;; amdgpu-corpus repo=ROCm/rocFFT kind=compiled arch=gfx950 opt=O3
	.text
	.amdgcn_target "amdgcn-amd-amdhsa--gfx950"
	.amdhsa_code_object_version 6
	.protected	fft_rtc_back_len1540_factors_11_2_7_5_2_wgs_154_tpt_154_halfLds_sp_op_CI_CI_unitstride_sbrr_R2C_dirReg ; -- Begin function fft_rtc_back_len1540_factors_11_2_7_5_2_wgs_154_tpt_154_halfLds_sp_op_CI_CI_unitstride_sbrr_R2C_dirReg
	.globl	fft_rtc_back_len1540_factors_11_2_7_5_2_wgs_154_tpt_154_halfLds_sp_op_CI_CI_unitstride_sbrr_R2C_dirReg
	.p2align	8
	.type	fft_rtc_back_len1540_factors_11_2_7_5_2_wgs_154_tpt_154_halfLds_sp_op_CI_CI_unitstride_sbrr_R2C_dirReg,@function
fft_rtc_back_len1540_factors_11_2_7_5_2_wgs_154_tpt_154_halfLds_sp_op_CI_CI_unitstride_sbrr_R2C_dirReg: ; @fft_rtc_back_len1540_factors_11_2_7_5_2_wgs_154_tpt_154_halfLds_sp_op_CI_CI_unitstride_sbrr_R2C_dirReg
; %bb.0:
	s_load_dwordx4 s[4:7], s[0:1], 0x58
	s_load_dwordx4 s[8:11], s[0:1], 0x0
	;; [unrolled: 1-line block ×3, first 2 shown]
	v_mul_u32_u24_e32 v1, 0x1aa, v0
	v_add_u32_sdwa v6, s2, v1 dst_sel:DWORD dst_unused:UNUSED_PAD src0_sel:DWORD src1_sel:WORD_1
	v_mov_b32_e32 v4, 0
	s_waitcnt lgkmcnt(0)
	v_cmp_lt_u64_e64 s[2:3], s[10:11], 2
	v_mov_b32_e32 v7, v4
	s_and_b64 vcc, exec, s[2:3]
	v_mov_b64_e32 v[2:3], 0
	s_cbranch_vccnz .LBB0_8
; %bb.1:
	s_load_dwordx2 s[2:3], s[0:1], 0x10
	s_add_u32 s16, s14, 8
	s_addc_u32 s17, s15, 0
	s_add_u32 s18, s12, 8
	s_addc_u32 s19, s13, 0
	s_waitcnt lgkmcnt(0)
	s_add_u32 s20, s2, 8
	v_mov_b64_e32 v[2:3], 0
	s_addc_u32 s21, s3, 0
	s_mov_b64 s[22:23], 1
	v_mov_b64_e32 v[24:25], v[2:3]
.LBB0_2:                                ; =>This Inner Loop Header: Depth=1
	s_load_dwordx2 s[24:25], s[20:21], 0x0
                                        ; implicit-def: $vgpr26_vgpr27
	s_waitcnt lgkmcnt(0)
	v_or_b32_e32 v5, s25, v7
	v_cmp_ne_u64_e32 vcc, 0, v[4:5]
	s_and_saveexec_b64 s[2:3], vcc
	s_xor_b64 s[26:27], exec, s[2:3]
	s_cbranch_execz .LBB0_4
; %bb.3:                                ;   in Loop: Header=BB0_2 Depth=1
	v_cvt_f32_u32_e32 v1, s24
	v_cvt_f32_u32_e32 v5, s25
	s_sub_u32 s2, 0, s24
	s_subb_u32 s3, 0, s25
	v_fmac_f32_e32 v1, 0x4f800000, v5
	v_rcp_f32_e32 v1, v1
	s_nop 0
	v_mul_f32_e32 v1, 0x5f7ffffc, v1
	v_mul_f32_e32 v5, 0x2f800000, v1
	v_trunc_f32_e32 v5, v5
	v_fmac_f32_e32 v1, 0xcf800000, v5
	v_cvt_u32_f32_e32 v5, v5
	v_cvt_u32_f32_e32 v1, v1
	v_mul_lo_u32 v8, s2, v5
	v_mul_hi_u32 v10, s2, v1
	v_mul_lo_u32 v9, s3, v1
	v_add_u32_e32 v10, v10, v8
	v_mul_lo_u32 v12, s2, v1
	v_add_u32_e32 v13, v10, v9
	v_mul_hi_u32 v8, v1, v12
	v_mul_hi_u32 v11, v1, v13
	v_mul_lo_u32 v10, v1, v13
	v_mov_b32_e32 v9, v4
	v_lshl_add_u64 v[8:9], v[8:9], 0, v[10:11]
	v_mul_hi_u32 v11, v5, v12
	v_mul_lo_u32 v12, v5, v12
	v_add_co_u32_e32 v8, vcc, v8, v12
	v_mul_hi_u32 v10, v5, v13
	s_nop 0
	v_addc_co_u32_e32 v8, vcc, v9, v11, vcc
	v_mov_b32_e32 v9, v4
	s_nop 0
	v_addc_co_u32_e32 v11, vcc, 0, v10, vcc
	v_mul_lo_u32 v10, v5, v13
	v_lshl_add_u64 v[8:9], v[8:9], 0, v[10:11]
	v_add_co_u32_e32 v1, vcc, v1, v8
	v_mul_lo_u32 v10, s2, v1
	s_nop 0
	v_addc_co_u32_e32 v5, vcc, v5, v9, vcc
	v_mul_lo_u32 v8, s2, v5
	v_mul_hi_u32 v9, s2, v1
	v_add_u32_e32 v8, v9, v8
	v_mul_lo_u32 v9, s3, v1
	v_add_u32_e32 v12, v8, v9
	v_mul_hi_u32 v14, v5, v10
	v_mul_lo_u32 v15, v5, v10
	v_mul_hi_u32 v9, v1, v12
	v_mul_lo_u32 v8, v1, v12
	v_mul_hi_u32 v10, v1, v10
	v_mov_b32_e32 v11, v4
	v_lshl_add_u64 v[8:9], v[10:11], 0, v[8:9]
	v_add_co_u32_e32 v8, vcc, v8, v15
	v_mul_hi_u32 v13, v5, v12
	s_nop 0
	v_addc_co_u32_e32 v8, vcc, v9, v14, vcc
	v_mul_lo_u32 v10, v5, v12
	s_nop 0
	v_addc_co_u32_e32 v11, vcc, 0, v13, vcc
	v_mov_b32_e32 v9, v4
	v_lshl_add_u64 v[8:9], v[8:9], 0, v[10:11]
	v_add_co_u32_e32 v1, vcc, v1, v8
	v_mul_hi_u32 v10, v6, v1
	s_nop 0
	v_addc_co_u32_e32 v5, vcc, v5, v9, vcc
	v_mad_u64_u32 v[8:9], s[2:3], v6, v5, 0
	v_mov_b32_e32 v11, v4
	v_lshl_add_u64 v[8:9], v[10:11], 0, v[8:9]
	v_mad_u64_u32 v[12:13], s[2:3], v7, v1, 0
	v_add_co_u32_e32 v1, vcc, v8, v12
	v_mad_u64_u32 v[10:11], s[2:3], v7, v5, 0
	s_nop 0
	v_addc_co_u32_e32 v8, vcc, v9, v13, vcc
	v_mov_b32_e32 v9, v4
	s_nop 0
	v_addc_co_u32_e32 v11, vcc, 0, v11, vcc
	v_lshl_add_u64 v[8:9], v[8:9], 0, v[10:11]
	v_mul_lo_u32 v1, s25, v8
	v_mul_lo_u32 v5, s24, v9
	v_mad_u64_u32 v[10:11], s[2:3], s24, v8, 0
	v_add3_u32 v1, v11, v5, v1
	v_sub_u32_e32 v5, v7, v1
	v_mov_b32_e32 v11, s25
	v_sub_co_u32_e32 v14, vcc, v6, v10
	v_lshl_add_u64 v[12:13], v[8:9], 0, 1
	s_nop 0
	v_subb_co_u32_e64 v5, s[2:3], v5, v11, vcc
	v_subrev_co_u32_e64 v10, s[2:3], s24, v14
	v_subb_co_u32_e32 v1, vcc, v7, v1, vcc
	s_nop 0
	v_subbrev_co_u32_e64 v5, s[2:3], 0, v5, s[2:3]
	v_cmp_le_u32_e64 s[2:3], s25, v5
	v_cmp_le_u32_e32 vcc, s25, v1
	s_nop 0
	v_cndmask_b32_e64 v11, 0, -1, s[2:3]
	v_cmp_le_u32_e64 s[2:3], s24, v10
	s_nop 1
	v_cndmask_b32_e64 v10, 0, -1, s[2:3]
	v_cmp_eq_u32_e64 s[2:3], s25, v5
	s_nop 1
	v_cndmask_b32_e64 v5, v11, v10, s[2:3]
	v_lshl_add_u64 v[10:11], v[8:9], 0, 2
	v_cmp_ne_u32_e64 s[2:3], 0, v5
	s_nop 1
	v_cndmask_b32_e64 v5, v13, v11, s[2:3]
	v_cndmask_b32_e64 v11, 0, -1, vcc
	v_cmp_le_u32_e32 vcc, s24, v14
	s_nop 1
	v_cndmask_b32_e64 v13, 0, -1, vcc
	v_cmp_eq_u32_e32 vcc, s25, v1
	s_nop 1
	v_cndmask_b32_e32 v1, v11, v13, vcc
	v_cmp_ne_u32_e32 vcc, 0, v1
	v_cndmask_b32_e64 v1, v12, v10, s[2:3]
	s_nop 0
	v_cndmask_b32_e32 v27, v9, v5, vcc
	v_cndmask_b32_e32 v26, v8, v1, vcc
.LBB0_4:                                ;   in Loop: Header=BB0_2 Depth=1
	s_andn2_saveexec_b64 s[2:3], s[26:27]
	s_cbranch_execz .LBB0_6
; %bb.5:                                ;   in Loop: Header=BB0_2 Depth=1
	v_cvt_f32_u32_e32 v1, s24
	s_sub_i32 s26, 0, s24
	v_mov_b32_e32 v27, v4
	v_rcp_iflag_f32_e32 v1, v1
	s_nop 0
	v_mul_f32_e32 v1, 0x4f7ffffe, v1
	v_cvt_u32_f32_e32 v1, v1
	v_mul_lo_u32 v5, s26, v1
	v_mul_hi_u32 v5, v1, v5
	v_add_u32_e32 v1, v1, v5
	v_mul_hi_u32 v1, v6, v1
	v_mul_lo_u32 v5, v1, s24
	v_sub_u32_e32 v5, v6, v5
	v_add_u32_e32 v8, 1, v1
	v_subrev_u32_e32 v9, s24, v5
	v_cmp_le_u32_e32 vcc, s24, v5
	s_nop 1
	v_cndmask_b32_e32 v5, v5, v9, vcc
	v_cndmask_b32_e32 v1, v1, v8, vcc
	v_add_u32_e32 v8, 1, v1
	v_cmp_le_u32_e32 vcc, s24, v5
	s_nop 1
	v_cndmask_b32_e32 v26, v1, v8, vcc
.LBB0_6:                                ;   in Loop: Header=BB0_2 Depth=1
	s_or_b64 exec, exec, s[2:3]
	v_mad_u64_u32 v[8:9], s[2:3], v26, s24, 0
	s_load_dwordx2 s[2:3], s[18:19], 0x0
	v_mul_lo_u32 v1, v27, s24
	v_mul_lo_u32 v5, v26, s25
	s_load_dwordx2 s[24:25], s[16:17], 0x0
	s_add_u32 s22, s22, 1
	v_add3_u32 v1, v9, v5, v1
	v_sub_co_u32_e32 v5, vcc, v6, v8
	s_addc_u32 s23, s23, 0
	s_nop 0
	v_subb_co_u32_e32 v1, vcc, v7, v1, vcc
	s_add_u32 s16, s16, 8
	s_waitcnt lgkmcnt(0)
	v_mul_lo_u32 v6, s2, v1
	v_mul_lo_u32 v7, s3, v5
	v_mad_u64_u32 v[2:3], s[2:3], s2, v5, v[2:3]
	s_addc_u32 s17, s17, 0
	v_add3_u32 v3, v7, v3, v6
	v_mul_lo_u32 v1, s24, v1
	v_mul_lo_u32 v6, s25, v5
	v_mad_u64_u32 v[24:25], s[2:3], s24, v5, v[24:25]
	s_add_u32 s18, s18, 8
	v_add3_u32 v25, v6, v25, v1
	s_addc_u32 s19, s19, 0
	v_mov_b64_e32 v[6:7], s[10:11]
	s_add_u32 s20, s20, 8
	v_cmp_ge_u64_e32 vcc, s[22:23], v[6:7]
	s_addc_u32 s21, s21, 0
	s_cbranch_vccnz .LBB0_9
; %bb.7:                                ;   in Loop: Header=BB0_2 Depth=1
	v_mov_b64_e32 v[6:7], v[26:27]
	s_branch .LBB0_2
.LBB0_8:
	v_mov_b64_e32 v[24:25], v[2:3]
	v_mov_b64_e32 v[26:27], v[6:7]
.LBB0_9:
	s_load_dwordx2 s[18:19], s[0:1], 0x28
	s_lshl_b64 s[16:17], s[10:11], 3
	s_add_u32 s2, s14, s16
	s_addc_u32 s3, s15, s17
                                        ; implicit-def: $vgpr28
	s_waitcnt lgkmcnt(0)
	v_cmp_gt_u64_e64 s[0:1], s[18:19], v[26:27]
	v_cmp_le_u64_e32 vcc, s[18:19], v[26:27]
	s_and_saveexec_b64 s[10:11], vcc
	s_xor_b64 s[10:11], exec, s[10:11]
; %bb.10:
	s_mov_b32 s14, 0x1a98ef7
	v_mul_hi_u32 v1, v0, s14
	v_mul_u32_u24_e32 v1, 0x9a, v1
	v_sub_u32_e32 v28, v0, v1
                                        ; implicit-def: $vgpr0
                                        ; implicit-def: $vgpr2_vgpr3
; %bb.11:
	s_andn2_saveexec_b64 s[10:11], s[10:11]
	s_cbranch_execz .LBB0_13
; %bb.12:
	s_add_u32 s12, s12, s16
	s_addc_u32 s13, s13, s17
	s_load_dwordx2 s[12:13], s[12:13], 0x0
	s_mov_b32 s14, 0x1a98ef7
	s_waitcnt lgkmcnt(0)
	v_mul_lo_u32 v1, s13, v26
	v_mul_lo_u32 v6, s12, v27
	v_mad_u64_u32 v[4:5], s[12:13], s12, v26, 0
	v_add3_u32 v5, v5, v6, v1
	v_mul_hi_u32 v1, v0, s14
	v_mul_u32_u24_e32 v1, 0x9a, v1
	v_sub_u32_e32 v28, v0, v1
	v_lshl_add_u64 v[0:1], v[4:5], 3, s[4:5]
	v_lshl_add_u64 v[0:1], v[2:3], 3, v[0:1]
	v_lshlrev_b32_e32 v2, 3, v28
	v_mov_b32_e32 v3, 0
	v_lshl_add_u64 v[0:1], v[0:1], 0, v[2:3]
	s_movk_i32 s4, 0x1000
	v_add_co_u32_e32 v12, vcc, s4, v0
	global_load_dwordx2 v[4:5], v[0:1], off
	global_load_dwordx2 v[6:7], v[0:1], off offset:1232
	global_load_dwordx2 v[8:9], v[0:1], off offset:2464
	;; [unrolled: 1-line block ×3, first 2 shown]
	v_addc_co_u32_e32 v13, vcc, 0, v1, vcc
	v_add_co_u32_e32 v0, vcc, 0x2000, v0
	s_nop 1
	v_addc_co_u32_e32 v1, vcc, 0, v1, vcc
	global_load_dwordx2 v[14:15], v[12:13], off offset:832
	global_load_dwordx2 v[16:17], v[12:13], off offset:2064
	;; [unrolled: 1-line block ×6, first 2 shown]
	v_add_u32_e32 v0, 0, v2
	v_add_u32_e32 v1, 0x800, v0
	;; [unrolled: 1-line block ×5, first 2 shown]
	s_waitcnt vmcnt(8)
	ds_write2_b64 v0, v[4:5], v[6:7] offset1:154
	s_waitcnt vmcnt(6)
	ds_write2_b64 v1, v[8:9], v[10:11] offset0:52 offset1:206
	s_waitcnt vmcnt(4)
	ds_write2_b64 v2, v[14:15], v[16:17] offset0:40 offset1:194
	;; [unrolled: 2-line block ×4, first 2 shown]
.LBB0_13:
	s_or_b64 exec, exec, s[10:11]
	v_lshl_add_u32 v80, v28, 3, 0
	v_add_u32_e32 v0, 0x800, v80
	s_waitcnt lgkmcnt(0)
	s_barrier
	ds_read2_b64 v[14:17], v0 offset0:24 offset1:164
	v_add_u32_e32 v0, 0x1000, v80
	ds_read2_b64 v[2:5], v80 offset1:140
	ds_read2_b64 v[18:21], v0 offset0:48 offset1:188
	ds_read_b64 v[48:49], v80 offset:11200
	v_add_u32_e32 v0, 0x2000, v80
	ds_read2_b64 v[6:9], v0 offset0:96 offset1:236
	s_mov_b32 s10, 0x3f575c64
	v_add_u32_e32 v0, 0x1800, v80
	s_waitcnt lgkmcnt(1)
	v_pk_add_f32 v[36:37], v[48:49], v[4:5]
	v_pk_add_f32 v[38:39], v[4:5], v[48:49] neg_lo:[0,1] neg_hi:[0,1]
	s_mov_b32 s11, 0xbf0a6770
	s_mov_b32 s12, 0x3ed4b147
	ds_read2_b64 v[10:13], v0 offset0:72 offset1:212
	s_waitcnt lgkmcnt(1)
	v_pk_add_f32 v[32:33], v[8:9], v[14:15]
	v_pk_add_f32 v[34:35], v[14:15], v[8:9] neg_lo:[0,1] neg_hi:[0,1]
	v_mov_b32_e32 v0, v39
	v_mov_b32_e32 v1, v37
	s_mov_b32 s4, s11
	s_mov_b32 s5, s10
	;; [unrolled: 1-line block ×3, first 2 shown]
	v_pk_mul_f32 v[50:51], v[0:1], s[4:5]
	v_mov_b32_e32 v58, v36
	v_mov_b32_e32 v59, v38
	;; [unrolled: 1-line block ×4, first 2 shown]
	s_mov_b32 s4, s13
	s_mov_b32 s5, s12
	v_pk_fma_f32 v[52:53], v[58:59], s[10:11], v[50:51]
	v_pk_fma_f32 v[0:1], v[58:59], s[10:11], v[50:51] neg_lo:[0,0,1] neg_hi:[0,0,1]
	v_pk_mul_f32 v[54:55], v[40:41], s[4:5]
	v_mov_b32_e32 v66, v32
	v_mov_b32_e32 v67, v34
	;; [unrolled: 1-line block ×3, first 2 shown]
	v_pk_fma_f32 v[56:57], v[66:67], s[12:13], v[54:55]
	v_pk_fma_f32 v[40:41], v[66:67], s[12:13], v[54:55] neg_lo:[0,0,1] neg_hi:[0,0,1]
	s_mov_b32 s14, 0xbe11bafb
	v_pk_add_f32 v[22:23], v[6:7], v[16:17]
	v_pk_add_f32 v[30:31], v[16:17], v[6:7] neg_lo:[0,1] neg_hi:[0,1]
	v_pk_add_f32 v[0:1], v[2:3], v[0:1]
	v_mov_b32_e32 v41, v57
	s_mov_b32 s15, 0xbf7d64f0
	v_pk_add_f32 v[0:1], v[40:41], v[0:1]
	v_mov_b32_e32 v40, v31
	v_mov_b32_e32 v41, v23
	s_mov_b32 s4, s15
	s_mov_b32 s5, s14
	v_pk_mul_f32 v[60:61], v[40:41], s[4:5]
	v_mov_b32_e32 v72, v22
	v_mov_b32_e32 v73, v30
	v_pk_fma_f32 v[62:63], v[72:73], s[14:15], v[60:61]
	v_pk_fma_f32 v[40:41], v[72:73], s[14:15], v[60:61] neg_lo:[0,0,1] neg_hi:[0,0,1]
	s_mov_b32 s16, 0xbf27a4f4
	v_mov_b32_e32 v41, v63
	v_pk_add_f32 v[0:1], v[40:41], v[0:1]
	s_waitcnt lgkmcnt(0)
	v_pk_add_f32 v[40:41], v[12:13], v[18:19]
	v_pk_add_f32 v[42:43], v[18:19], v[12:13] neg_lo:[0,1] neg_hi:[0,1]
	s_mov_b32 s17, 0xbf4178ce
	v_mov_b32_e32 v44, v43
	v_mov_b32_e32 v45, v41
	s_mov_b32 s4, s17
	s_mov_b32 s5, s16
	v_pk_mul_f32 v[64:65], v[44:45], s[4:5]
	v_mov_b32_e32 v76, v40
	v_mov_b32_e32 v77, v42
	v_pk_fma_f32 v[68:69], v[76:77], s[16:17], v[64:65]
	v_pk_fma_f32 v[44:45], v[76:77], s[16:17], v[64:65] neg_lo:[0,0,1] neg_hi:[0,0,1]
	s_mov_b32 s18, 0xbf75a155
	v_mov_b32_e32 v45, v69
	v_pk_add_f32 v[0:1], v[44:45], v[0:1]
	v_pk_add_f32 v[44:45], v[10:11], v[20:21]
	v_pk_add_f32 v[46:47], v[20:21], v[10:11] neg_lo:[0,1] neg_hi:[0,1]
	s_mov_b32 s19, 0xbe903f40
	v_mov_b32_e32 v70, v47
	v_mov_b32_e32 v71, v45
	s_mov_b32 s4, s19
	s_mov_b32 s5, s18
	v_pk_mul_f32 v[70:71], v[70:71], s[4:5]
	v_mov_b32_e32 v78, v44
	v_mov_b32_e32 v79, v46
	v_pk_fma_f32 v[74:75], v[78:79], s[18:19], v[70:71]
	v_pk_fma_f32 v[82:83], v[78:79], s[18:19], v[70:71] neg_lo:[0,0,1] neg_hi:[0,0,1]
	s_movk_i32 s4, 0x8c
	v_mov_b32_e32 v83, v75
	v_pk_add_f32 v[0:1], v[82:83], v[0:1]
	v_cmp_gt_u32_e32 vcc, s4, v28
	s_barrier
	s_and_saveexec_b64 s[4:5], vcc
	s_cbranch_execz .LBB0_15
; %bb.14:
	v_pk_add_f32 v[4:5], v[2:3], v[4:5]
	s_mov_b32 s20, s13
	v_pk_add_f32 v[4:5], v[4:5], v[14:15]
	v_pk_mul_f32 v[14:15], v[58:59], s[10:11]
	v_pk_add_f32 v[4:5], v[4:5], v[16:17]
	v_pk_mul_f32 v[16:17], v[66:67], s[12:13]
	v_pk_add_f32 v[4:5], v[4:5], v[18:19]
	v_pk_add_f32 v[14:15], v[50:51], v[14:15] neg_lo:[0,1] neg_hi:[0,1]
	v_pk_add_f32 v[4:5], v[4:5], v[20:21]
	v_pk_mul_f32 v[18:19], v[72:73], s[14:15]
	v_mov_b32_e32 v53, v15
	v_pk_add_f32 v[16:17], v[54:55], v[16:17] neg_lo:[0,1] neg_hi:[0,1]
	v_pk_mul_f32 v[20:21], v[76:77], s[16:17]
	v_pk_add_f32 v[4:5], v[4:5], v[10:11]
	v_pk_add_f32 v[14:15], v[2:3], v[52:53]
	v_mov_b32_e32 v57, v17
	v_pk_add_f32 v[16:17], v[60:61], v[18:19] neg_lo:[0,1] neg_hi:[0,1]
	v_pk_mul_f32 v[58:59], v[78:79], s[18:19]
	v_pk_add_f32 v[4:5], v[4:5], v[12:13]
	v_pk_add_f32 v[14:15], v[56:57], v[14:15]
	v_mov_b32_e32 v63, v17
	v_pk_add_f32 v[16:17], v[64:65], v[20:21] neg_lo:[0,1] neg_hi:[0,1]
	v_pk_mul_f32 v[66:67], v[38:39], s[20:21] op_sel_hi:[1,0]
	s_mov_b32 s20, s17
	v_pk_add_f32 v[4:5], v[4:5], v[6:7]
	v_pk_add_f32 v[14:15], v[62:63], v[14:15]
	v_mov_b32_e32 v69, v17
	v_pk_add_f32 v[16:17], v[70:71], v[58:59] neg_lo:[0,1] neg_hi:[0,1]
	v_pk_mul_f32 v[10:11], v[34:35], s[20:21] op_sel_hi:[1,0]
	v_pk_add_f32 v[4:5], v[4:5], v[8:9]
	s_movk_i32 s21, 0x50
	v_pk_add_f32 v[14:15], v[68:69], v[14:15]
	v_mov_b32_e32 v75, v17
	v_mad_u32_u24 v29, v28, s21, v80
	v_pk_add_f32 v[4:5], v[4:5], v[48:49]
	v_pk_add_f32 v[14:15], v[74:75], v[14:15]
	ds_write2_b64 v29, v[4:5], v[14:15] offset1:1
	v_pk_fma_f32 v[4:5], v[36:37], s[12:13], v[66:67] op_sel:[0,0,1] op_sel_hi:[1,0,0]
	v_pk_fma_f32 v[14:15], v[36:37], s[12:13], v[66:67] op_sel:[0,0,1] op_sel_hi:[1,0,0] neg_lo:[0,0,1] neg_hi:[0,0,1]
	s_mov_b32 s28, 0x3e903f40
	v_mov_b32_e32 v16, v4
	v_mov_b32_e32 v17, v15
	v_pk_fma_f32 v[18:19], v[32:33], s[16:17], v[10:11] op_sel:[0,0,1] op_sel_hi:[1,0,0]
	v_pk_fma_f32 v[10:11], v[32:33], s[16:17], v[10:11] op_sel:[0,0,1] op_sel_hi:[1,0,0] neg_lo:[0,0,1] neg_hi:[0,0,1]
	v_pk_mul_f32 v[12:13], v[30:31], s[28:29] op_sel_hi:[1,0]
	v_pk_add_f32 v[16:17], v[2:3], v[16:17]
	v_mov_b32_e32 v20, v18
	v_mov_b32_e32 v21, v11
	s_mov_b32 s24, 0x3f7d64f0
	v_pk_add_f32 v[16:17], v[20:21], v[16:17]
	v_pk_fma_f32 v[20:21], v[22:23], s[18:19], v[12:13] op_sel:[0,0,1] op_sel_hi:[1,0,0]
	v_pk_fma_f32 v[12:13], v[22:23], s[18:19], v[12:13] op_sel:[0,0,1] op_sel_hi:[1,0,0] neg_lo:[0,0,1] neg_hi:[0,0,1]
	v_pk_mul_f32 v[6:7], v[42:43], s[24:25] op_sel_hi:[1,0]
	v_mov_b32_e32 v48, v20
	v_mov_b32_e32 v49, v13
	s_mov_b32 s22, 0x3f0a6770
	v_pk_add_f32 v[16:17], v[48:49], v[16:17]
	v_pk_fma_f32 v[48:49], v[40:41], s[14:15], v[6:7] op_sel:[0,0,1] op_sel_hi:[1,0,0]
	v_pk_fma_f32 v[6:7], v[40:41], s[14:15], v[6:7] op_sel:[0,0,1] op_sel_hi:[1,0,0] neg_lo:[0,0,1] neg_hi:[0,0,1]
	v_pk_mul_f32 v[8:9], v[46:47], s[22:23] op_sel_hi:[1,0]
	v_mov_b32_e32 v50, v48
	v_mov_b32_e32 v51, v7
	v_pk_add_f32 v[16:17], v[50:51], v[16:17]
	v_pk_fma_f32 v[50:51], v[44:45], s[10:11], v[8:9] op_sel:[0,0,1] op_sel_hi:[1,0,0]
	v_pk_fma_f32 v[8:9], v[44:45], s[10:11], v[8:9] op_sel:[0,0,1] op_sel_hi:[1,0,0] neg_lo:[0,0,1] neg_hi:[0,0,1]
	v_mov_b32_e32 v52, v50
	v_mov_b32_e32 v53, v9
	s_mov_b32 s26, s15
	v_pk_add_f32 v[16:17], v[52:53], v[16:17]
	v_pk_mul_f32 v[52:53], v[38:39], s[26:27] op_sel_hi:[1,0]
	v_pk_mul_f32 v[54:55], v[34:35], s[28:29] op_sel_hi:[1,0]
	v_pk_fma_f32 v[62:63], v[36:37], s[14:15], v[52:53] op_sel:[0,0,1] op_sel_hi:[1,0,0]
	v_pk_fma_f32 v[52:53], v[36:37], s[14:15], v[52:53] op_sel:[0,0,1] op_sel_hi:[1,0,0] neg_lo:[0,0,1] neg_hi:[0,0,1]
	s_mov_b32 s28, 0x3f68dda4
	v_mov_b32_e32 v64, v62
	v_mov_b32_e32 v65, v53
	v_pk_fma_f32 v[66:67], v[32:33], s[18:19], v[54:55] op_sel:[0,0,1] op_sel_hi:[1,0,0]
	v_pk_fma_f32 v[54:55], v[32:33], s[18:19], v[54:55] op_sel:[0,0,1] op_sel_hi:[1,0,0] neg_lo:[0,0,1] neg_hi:[0,0,1]
	v_pk_mul_f32 v[56:57], v[30:31], s[28:29] op_sel_hi:[1,0]
	v_pk_add_f32 v[64:65], v[2:3], v[64:65]
	v_mov_b32_e32 v68, v66
	v_mov_b32_e32 v69, v55
	s_mov_b32 s30, s11
	v_pk_add_f32 v[64:65], v[68:69], v[64:65]
	v_pk_fma_f32 v[68:69], v[22:23], s[12:13], v[56:57] op_sel:[0,0,1] op_sel_hi:[1,0,0]
	v_pk_fma_f32 v[56:57], v[22:23], s[12:13], v[56:57] op_sel:[0,0,1] op_sel_hi:[1,0,0] neg_lo:[0,0,1] neg_hi:[0,0,1]
	v_pk_mul_f32 v[58:59], v[42:43], s[30:31] op_sel_hi:[1,0]
	v_mov_b32_e32 v70, v68
	v_mov_b32_e32 v71, v57
	v_pk_add_f32 v[64:65], v[70:71], v[64:65]
	v_pk_fma_f32 v[70:71], v[40:41], s[10:11], v[58:59] op_sel:[0,0,1] op_sel_hi:[1,0,0]
	v_pk_fma_f32 v[58:59], v[40:41], s[10:11], v[58:59] op_sel:[0,0,1] op_sel_hi:[1,0,0] neg_lo:[0,0,1] neg_hi:[0,0,1]
	v_pk_mul_f32 v[60:61], v[46:47], s[20:21] op_sel_hi:[1,0]
	v_mov_b32_e32 v72, v70
	v_mov_b32_e32 v73, v59
	v_pk_add_f32 v[64:65], v[72:73], v[64:65]
	v_pk_fma_f32 v[72:73], v[44:45], s[16:17], v[60:61] op_sel:[0,0,1] op_sel_hi:[1,0,0]
	v_pk_fma_f32 v[60:61], v[44:45], s[16:17], v[60:61] op_sel:[0,0,1] op_sel_hi:[1,0,0] neg_lo:[0,0,1] neg_hi:[0,0,1]
	v_mov_b32_e32 v74, v72
	v_mov_b32_e32 v75, v61
	v_pk_add_f32 v[64:65], v[74:75], v[64:65]
	ds_write2_b64 v29, v[16:17], v[64:65] offset0:2 offset1:3
	v_pk_mul_f32 v[16:17], v[38:39], s[20:21] op_sel_hi:[1,0]
	v_pk_mul_f32 v[76:77], v[34:35], s[24:25] op_sel_hi:[1,0]
	v_pk_fma_f32 v[64:65], v[36:37], s[16:17], v[16:17] op_sel:[0,0,1] op_sel_hi:[1,0,0]
	v_pk_fma_f32 v[16:17], v[36:37], s[16:17], v[16:17] op_sel:[0,0,1] op_sel_hi:[1,0,0] neg_lo:[0,0,1] neg_hi:[0,0,1]
	v_mov_b32_e32 v74, v64
	v_mov_b32_e32 v75, v17
	v_pk_fma_f32 v[78:79], v[32:33], s[14:15], v[76:77] op_sel:[0,0,1] op_sel_hi:[1,0,0]
	v_pk_fma_f32 v[76:77], v[32:33], s[14:15], v[76:77] op_sel:[0,0,1] op_sel_hi:[1,0,0] neg_lo:[0,0,1] neg_hi:[0,0,1]
	v_pk_add_f32 v[74:75], v[2:3], v[74:75]
	v_mov_b32_e32 v82, v78
	v_mov_b32_e32 v83, v77
	v_pk_add_f32 v[74:75], v[82:83], v[74:75]
	v_pk_mul_f32 v[82:83], v[30:31], s[30:31] op_sel_hi:[1,0]
	s_mov_b32 s24, s19
	v_pk_fma_f32 v[84:85], v[22:23], s[10:11], v[82:83] op_sel:[0,0,1] op_sel_hi:[1,0,0]
	v_pk_fma_f32 v[82:83], v[22:23], s[10:11], v[82:83] op_sel:[0,0,1] op_sel_hi:[1,0,0] neg_lo:[0,0,1] neg_hi:[0,0,1]
	v_mov_b32_e32 v86, v84
	v_mov_b32_e32 v87, v83
	v_pk_add_f32 v[74:75], v[86:87], v[74:75]
	v_pk_mul_f32 v[86:87], v[42:43], s[24:25] op_sel_hi:[1,0]
	v_pk_mul_f32 v[38:39], v[38:39], s[24:25] op_sel_hi:[1,0]
	v_pk_fma_f32 v[88:89], v[40:41], s[18:19], v[86:87] op_sel:[0,0,1] op_sel_hi:[1,0,0]
	v_pk_fma_f32 v[86:87], v[40:41], s[18:19], v[86:87] op_sel:[0,0,1] op_sel_hi:[1,0,0] neg_lo:[0,0,1] neg_hi:[0,0,1]
	v_mov_b32_e32 v90, v88
	v_mov_b32_e32 v91, v87
	v_pk_add_f32 v[74:75], v[90:91], v[74:75]
	v_pk_mul_f32 v[90:91], v[46:47], s[28:29] op_sel_hi:[1,0]
	v_pk_mul_f32 v[34:35], v[34:35], s[22:23] op_sel_hi:[1,0]
	v_pk_fma_f32 v[92:93], v[44:45], s[12:13], v[90:91] op_sel:[0,0,1] op_sel_hi:[1,0,0]
	v_pk_fma_f32 v[90:91], v[44:45], s[12:13], v[90:91] op_sel:[0,0,1] op_sel_hi:[1,0,0] neg_lo:[0,0,1] neg_hi:[0,0,1]
	v_mov_b32_e32 v94, v92
	v_mov_b32_e32 v95, v91
	v_pk_add_f32 v[74:75], v[94:95], v[74:75]
	v_pk_fma_f32 v[94:95], v[36:37], s[18:19], v[38:39] op_sel:[0,0,1] op_sel_hi:[1,0,0]
	v_pk_fma_f32 v[36:37], v[36:37], s[18:19], v[38:39] op_sel:[0,0,1] op_sel_hi:[1,0,0] neg_lo:[0,0,1] neg_hi:[0,0,1]
	v_pk_fma_f32 v[38:39], v[32:33], s[10:11], v[34:35] op_sel:[0,0,1] op_sel_hi:[1,0,0]
	v_pk_fma_f32 v[32:33], v[32:33], s[10:11], v[34:35] op_sel:[0,0,1] op_sel_hi:[1,0,0] neg_lo:[0,0,1] neg_hi:[0,0,1]
	v_mov_b32_e32 v34, v94
	v_mov_b32_e32 v35, v37
	v_pk_add_f32 v[34:35], v[2:3], v[34:35]
	v_mov_b32_e32 v96, v38
	v_mov_b32_e32 v97, v33
	v_pk_mul_f32 v[30:31], v[30:31], s[20:21] op_sel_hi:[1,0]
	v_pk_add_f32 v[34:35], v[96:97], v[34:35]
	v_pk_fma_f32 v[96:97], v[22:23], s[16:17], v[30:31] op_sel:[0,0,1] op_sel_hi:[1,0,0]
	v_pk_fma_f32 v[22:23], v[22:23], s[16:17], v[30:31] op_sel:[0,0,1] op_sel_hi:[1,0,0] neg_lo:[0,0,1] neg_hi:[0,0,1]
	v_mov_b32_e32 v30, v96
	v_mov_b32_e32 v31, v23
	v_pk_add_f32 v[30:31], v[30:31], v[34:35]
	v_pk_mul_f32 v[34:35], v[42:43], s[28:29] op_sel_hi:[1,0]
	v_mov_b32_e32 v37, v95
	v_pk_fma_f32 v[42:43], v[40:41], s[12:13], v[34:35] op_sel:[0,0,1] op_sel_hi:[1,0,0]
	v_pk_fma_f32 v[34:35], v[40:41], s[12:13], v[34:35] op_sel:[0,0,1] op_sel_hi:[1,0,0] neg_lo:[0,0,1] neg_hi:[0,0,1]
	v_mov_b32_e32 v40, v42
	v_mov_b32_e32 v41, v35
	v_pk_add_f32 v[30:31], v[40:41], v[30:31]
	v_pk_mul_f32 v[40:41], v[46:47], s[26:27] op_sel_hi:[1,0]
	v_mov_b32_e32 v17, v65
	v_pk_fma_f32 v[46:47], v[44:45], s[14:15], v[40:41] op_sel:[0,0,1] op_sel_hi:[1,0,0]
	v_pk_fma_f32 v[40:41], v[44:45], s[14:15], v[40:41] op_sel:[0,0,1] op_sel_hi:[1,0,0] neg_lo:[0,0,1] neg_hi:[0,0,1]
	v_mov_b32_e32 v44, v46
	v_mov_b32_e32 v45, v41
	v_pk_add_f32 v[30:31], v[44:45], v[30:31]
	ds_write2_b64 v29, v[74:75], v[30:31] offset0:4 offset1:5
	v_mov_b32_e32 v33, v39
	v_pk_add_f32 v[30:31], v[2:3], v[36:37]
	v_pk_add_f32 v[16:17], v[2:3], v[16:17]
	v_mov_b32_e32 v77, v79
	v_pk_add_f32 v[30:31], v[32:33], v[30:31]
	v_mov_b32_e32 v23, v97
	;; [unrolled: 2-line block ×7, first 2 shown]
	v_pk_add_f32 v[22:23], v[40:41], v[22:23]
	v_pk_add_f32 v[16:17], v[90:91], v[16:17]
	v_mov_b32_e32 v53, v63
	v_mov_b32_e32 v15, v5
	ds_write2_b64 v29, v[22:23], v[16:17] offset0:6 offset1:7
	v_pk_add_f32 v[16:17], v[2:3], v[52:53]
	v_mov_b32_e32 v55, v67
	v_pk_add_f32 v[2:3], v[2:3], v[14:15]
	v_mov_b32_e32 v11, v19
	;; [unrolled: 2-line block ×8, first 2 shown]
	v_pk_add_f32 v[16:17], v[60:61], v[16:17]
	v_pk_add_f32 v[2:3], v[8:9], v[2:3]
	ds_write2_b64 v29, v[16:17], v[2:3] offset0:8 offset1:9
	ds_write_b64 v29, v[0:1] offset:80
.LBB0_15:
	s_or_b64 exec, exec, s[4:5]
	v_add_u32_e32 v29, 0x9a, v28
	s_mov_b32 s4, 0xba2f
	v_mul_u32_u24_sdwa v31, v29, s4 dst_sel:DWORD dst_unused:UNUSED_PAD src0_sel:WORD_0 src1_sel:DWORD
	v_lshrrev_b32_e32 v44, 19, v31
	v_add_u32_e32 v2, 0x268, v28
	v_mul_lo_u16_e32 v3, 11, v44
	v_add_u32_e32 v32, 0x134, v28
	v_sub_u16_e32 v3, v29, v3
	v_mul_u32_u24_sdwa v4, v2, s4 dst_sel:DWORD dst_unused:UNUSED_PAD src0_sel:WORD_0 src1_sel:DWORD
	v_lshrrev_b32_e32 v45, 19, v4
	v_lshlrev_b32_e32 v46, 3, v3
	v_mul_u32_u24_sdwa v3, v32, s4 dst_sel:DWORD dst_unused:UNUSED_PAD src0_sel:WORD_0 src1_sel:DWORD
	v_add_u32_e32 v30, 0x1ce, v28
	v_mul_lo_u16_e32 v4, 11, v45
	v_lshrrev_b32_e32 v47, 19, v3
	v_sub_u16_e32 v2, v2, v4
	v_mul_lo_u16_e32 v3, 11, v47
	v_mul_u32_u24_sdwa v4, v30, s4 dst_sel:DWORD dst_unused:UNUSED_PAD src0_sel:WORD_0 src1_sel:DWORD
	s_movk_i32 s4, 0x75
	v_sub_u16_e32 v3, v32, v3
	v_lshlrev_b32_e32 v51, 3, v2
	v_mul_lo_u16_sdwa v2, v28, s4 dst_sel:DWORD dst_unused:UNUSED_PAD src0_sel:BYTE_0 src1_sel:DWORD
	v_lshlrev_b32_e32 v50, 3, v3
	v_sub_u16_sdwa v3, v28, v2 dst_sel:DWORD dst_unused:UNUSED_PAD src0_sel:DWORD src1_sel:BYTE_1
	v_lshrrev_b16_e32 v3, 1, v3
	v_lshrrev_b32_e32 v48, 19, v4
	v_and_b32_e32 v3, 0x7f, v3
	v_mul_lo_u16_e32 v4, 11, v48
	v_add_u16_sdwa v2, v3, v2 dst_sel:DWORD dst_unused:UNUSED_PAD src0_sel:DWORD src1_sel:BYTE_1
	v_sub_u16_e32 v4, v30, v4
	v_lshrrev_b16_e32 v52, 3, v2
	v_lshlrev_b32_e32 v49, 3, v4
	v_mul_lo_u16_e32 v2, 11, v52
	s_load_dwordx2 s[2:3], s[2:3], 0x0
	s_waitcnt lgkmcnt(0)
	s_barrier
	global_load_dwordx2 v[6:7], v49, s[8:9]
	global_load_dwordx2 v[20:21], v51, s[8:9]
	;; [unrolled: 1-line block ×4, first 2 shown]
	v_sub_u16_e32 v2, v28, v2
	v_mov_b32_e32 v33, 3
	v_lshlrev_b32_sdwa v53, v33, v2 dst_sel:DWORD dst_unused:UNUSED_PAD src0_sel:DWORD src1_sel:BYTE_0
	global_load_dwordx2 v[36:37], v53, s[8:9]
	v_add_u32_e32 v2, 0x1200, v80
	v_add_u32_e32 v3, 0x1c00, v80
	ds_read2_b64 v[8:11], v80 offset1:154
	ds_read2_b64 v[12:15], v2 offset0:40 offset1:194
	ds_read2_b64 v[2:5], v3 offset0:28 offset1:182
	v_add_u32_e32 v16, 0x2400, v80
	s_mov_b32 s5, 0x5040100
	s_movk_i32 s4, 0xb0
	v_lshl_add_u32 v39, v32, 3, 0
	v_lshl_add_u32 v38, v30, 3, 0
	ds_read2_b64 v[16:19], v16 offset0:80 offset1:234
	ds_read_b64 v[40:41], v38
	ds_read_b64 v[42:43], v39
	v_perm_b32 v47, v48, v47, s5
	v_mul_u32_u24_e32 v44, 0xb0, v44
	v_pk_mul_lo_u16 v47, v47, s4 op_sel_hi:[1,0]
	v_mul_u32_u24_e32 v45, 0xb0, v45
	v_and_b32_e32 v48, 0xfff0, v47
	v_lshrrev_b32_e32 v47, 16, v47
	v_add3_u32 v54, 0, v44, v46
	v_mul_u32_u24_e32 v44, 0xb0, v52
	v_add3_u32 v55, 0, v48, v50
	v_add3_u32 v56, 0, v47, v49
	;; [unrolled: 1-line block ×4, first 2 shown]
	s_waitcnt lgkmcnt(0)
	s_barrier
	s_movk_i32 s4, 0x42
	v_cmp_gt_u32_e32 vcc, s4, v28
	s_waitcnt vmcnt(4)
	v_pk_mul_f32 v[44:45], v[6:7], v[16:17] op_sel:[0,1]
	s_waitcnt vmcnt(3)
	v_pk_mul_f32 v[46:47], v[20:21], v[18:19] op_sel:[0,1]
	;; [unrolled: 2-line block ×4, first 2 shown]
	v_pk_fma_f32 v[52:53], v[6:7], v[16:17], v[44:45] op_sel:[0,0,1] op_sel_hi:[1,1,0]
	v_pk_fma_f32 v[6:7], v[6:7], v[16:17], v[44:45] op_sel:[0,0,1] op_sel_hi:[1,0,0] neg_lo:[1,0,0] neg_hi:[1,0,0]
	v_pk_fma_f32 v[16:17], v[20:21], v[18:19], v[46:47] op_sel:[0,0,1] op_sel_hi:[1,1,0]
	v_pk_fma_f32 v[18:19], v[20:21], v[18:19], v[46:47] op_sel:[0,0,1] op_sel_hi:[1,0,0] neg_lo:[1,0,0] neg_hi:[1,0,0]
	;; [unrolled: 2-line block ×4, first 2 shown]
	v_mov_b32_e32 v17, v19
	v_mov_b32_e32 v21, v5
	v_pk_add_f32 v[34:35], v[12:13], v[16:17] neg_lo:[0,1] neg_hi:[0,1]
	v_pk_add_f32 v[16:17], v[42:43], v[20:21] neg_lo:[0,1] neg_hi:[0,1]
	v_mov_b32_e32 v23, v3
	s_waitcnt vmcnt(0)
	v_pk_mul_f32 v[20:21], v[36:37], v[14:15] op_sel:[0,1]
	v_pk_add_f32 v[2:3], v[10:11], v[22:23] neg_lo:[0,1] neg_hi:[0,1]
	v_pk_fma_f32 v[22:23], v[36:37], v[14:15], v[20:21] op_sel:[0,0,1] op_sel_hi:[1,1,0]
	v_pk_fma_f32 v[14:15], v[36:37], v[14:15], v[20:21] op_sel:[0,0,1] op_sel_hi:[1,0,0] neg_lo:[1,0,0] neg_hi:[1,0,0]
	v_mov_b32_e32 v53, v7
	v_mov_b32_e32 v23, v15
	v_pk_add_f32 v[14:15], v[8:9], v[22:23] neg_lo:[0,1] neg_hi:[0,1]
	v_pk_add_f32 v[4:5], v[40:41], v[52:53] neg_lo:[0,1] neg_hi:[0,1]
	v_pk_fma_f32 v[8:9], v[8:9], 2.0, v[14:15] op_sel_hi:[1,0,1] neg_lo:[0,0,1] neg_hi:[0,0,1]
	v_pk_fma_f32 v[6:7], v[12:13], 2.0, v[34:35] op_sel_hi:[1,0,1] neg_lo:[0,0,1] neg_hi:[0,0,1]
	;; [unrolled: 1-line block ×5, first 2 shown]
	ds_write2_b64 v58, v[8:9], v[14:15] offset1:11
	ds_write2_b64 v54, v[10:11], v[2:3] offset1:11
	ds_write2_b64 v55, v[18:19], v[16:17] offset1:11
	ds_write2_b64 v56, v[12:13], v[4:5] offset1:11
	ds_write2_b64 v57, v[6:7], v[34:35] offset1:11
	v_add_u32_e32 v2, 0xd00, v80
	s_waitcnt lgkmcnt(0)
	s_barrier
	ds_read2_b64 v[16:19], v2 offset0:24 offset1:244
	v_add_u32_e32 v2, 0x1b00, v80
	ds_read2_b64 v[12:15], v80 offset1:220
	ds_read2_b64 v[20:23], v2 offset0:16 offset1:236
	ds_read_b64 v[36:37], v80 offset:10560
                                        ; implicit-def: $vgpr11
	s_and_saveexec_b64 s[4:5], vcc
	s_cbranch_execz .LBB0_17
; %bb.16:
	v_add_u32_e32 v0, 0x400, v80
	ds_read2_b64 v[4:7], v0 offset0:26 offset1:246
	v_add_u32_e32 v0, 0x1000, v80
	ds_read2_b32 v[34:35], v0 offset0:164 offset1:165
	v_add_u32_e32 v0, 0x1900, v80
	v_add_u32_e32 v8, 0x2700, v80
	ds_read2_b64 v[0:3], v0 offset0:14 offset1:234
	ds_read2_b64 v[8:11], v8 offset0:6 offset1:226
.LBB0_17:
	s_or_b64 exec, exec, s[4:5]
	v_lshrrev_b16_e32 v40, 1, v28
	v_and_b32_e32 v40, 0x7f, v40
	v_mul_lo_u16_e32 v40, 0xbb, v40
	v_lshrrev_b16_e32 v57, 11, v40
	v_mul_lo_u16_e32 v40, 22, v57
	v_sub_u16_e32 v59, v28, v40
	v_mov_b32_e32 v40, 6
	v_mul_u32_u24_sdwa v40, v59, v40 dst_sel:DWORD dst_unused:UNUSED_PAD src0_sel:BYTE_0 src1_sel:DWORD
	v_lshlrev_b32_e32 v52, 3, v40
	global_load_dwordx4 v[40:43], v52, s[8:9] offset:104
	global_load_dwordx4 v[44:47], v52, s[8:9] offset:88
	;; [unrolled: 1-line block ×3, first 2 shown]
	s_waitcnt lgkmcnt(3)
	v_mov_b32_e32 v52, v19
	v_mov_b32_e32 v53, v18
	s_waitcnt lgkmcnt(1)
	v_mov_b32_e32 v54, v21
	v_mov_b32_e32 v55, v20
	v_mov_b32_e32 v56, v15
	v_mov_b32_e32 v58, v17
	v_mov_b32_e32 v60, v23
	s_waitcnt lgkmcnt(0)
	v_mov_b32_e32 v62, v37
	v_mul_u32_u24_e32 v19, 0x4d0, v57
	v_lshlrev_b32_sdwa v21, v33, v59 dst_sel:DWORD dst_unused:UNUSED_PAD src0_sel:DWORD src1_sel:BYTE_0
	v_add3_u32 v33, 0, v19, v21
	s_mov_b32 s10, 0x3f08b237
	s_mov_b32 s20, 0x3d64c772
	;; [unrolled: 1-line block ×10, first 2 shown]
	s_barrier
	s_mov_b32 s14, 0xbf5ff5aa
	s_mov_b32 s16, 0x3f3bfb3b
	s_waitcnt vmcnt(2)
	v_pk_mul_f32 v[66:67], v[40:41], v[52:53]
	v_mov_b32_e32 v64, v41
	v_mov_b32_e32 v66, v43
	v_pk_mul_f32 v[68:69], v[42:43], v[54:55]
	s_waitcnt vmcnt(1)
	v_pk_mul_f32 v[70:71], v[44:45], v[14:15] op_sel_hi:[1,0]
	v_pk_mul_f32 v[72:73], v[46:47], v[16:17] op_sel_hi:[1,0]
	s_waitcnt vmcnt(0)
	v_pk_mul_f32 v[74:75], v[48:49], v[22:23] op_sel_hi:[1,0]
	v_pk_mul_f32 v[76:77], v[50:51], v[36:37] op_sel_hi:[1,0]
	;; [unrolled: 1-line block ×4, first 2 shown]
	v_pk_mul_f32 v[64:65], v[64:65], v[52:53]
	v_mov_b32_e32 v68, v67
	v_pk_mul_f32 v[66:67], v[66:67], v[54:55]
	v_pk_fma_f32 v[56:57], v[44:45], v[56:57], v[70:71] op_sel:[0,0,1] op_sel_hi:[1,1,0] neg_lo:[0,0,1] neg_hi:[0,0,1]
	v_pk_fma_f32 v[14:15], v[44:45], v[14:15], v[70:71] op_sel:[0,1,1] op_sel_hi:[1,1,0]
	v_pk_fma_f32 v[44:45], v[46:47], v[58:59], v[72:73] op_sel:[0,0,1] op_sel_hi:[1,1,0] neg_lo:[0,0,1] neg_hi:[0,0,1]
	v_pk_fma_f32 v[16:17], v[46:47], v[16:17], v[72:73] op_sel:[0,1,1] op_sel_hi:[1,1,0]
	;; [unrolled: 2-line block ×4, first 2 shown]
	v_mov_b32_e32 v78, v69
	v_mov_b32_e32 v57, v15
	;; [unrolled: 1-line block ×9, first 2 shown]
	v_pk_fma_f32 v[40:41], v[40:41], v[52:53], v[68:69] neg_lo:[0,0,1] neg_hi:[0,0,1]
	v_pk_fma_f32 v[42:43], v[42:43], v[54:55], v[78:79] neg_lo:[0,0,1] neg_hi:[0,0,1]
	v_pk_add_f32 v[14:15], v[56:57], v[48:49]
	v_pk_add_f32 v[22:23], v[44:45], v[46:47]
	;; [unrolled: 1-line block ×4, first 2 shown]
	v_pk_add_f32 v[36:37], v[44:45], v[46:47] neg_lo:[0,1] neg_hi:[0,1]
	v_mov_b32_e32 v45, v40
	v_mov_b32_e32 v47, v42
	;; [unrolled: 1-line block ×6, first 2 shown]
	v_pk_add_f32 v[16:17], v[56:57], v[48:49] neg_lo:[0,1] neg_hi:[0,1]
	v_pk_add_f32 v[56:57], v[18:19], v[20:21]
	v_pk_add_f32 v[40:41], v[42:43], v[40:41] neg_lo:[0,1] neg_hi:[0,1]
	v_pk_add_f32 v[42:43], v[44:45], v[46:47]
	v_mov_b32_e32 v49, v17
	v_mov_b32_e32 v50, v36
	;; [unrolled: 1-line block ×12, first 2 shown]
	v_pk_add_f32 v[44:45], v[48:49], v[50:51] neg_lo:[0,1] neg_hi:[0,1]
	v_pk_add_f32 v[48:49], v[20:21], v[58:59] neg_lo:[0,1] neg_hi:[0,1]
	v_mov_b32_e32 v61, v43
	v_mov_b32_e32 v18, v56
	v_pk_add_f32 v[42:43], v[42:43], v[56:57]
	v_pk_add_f32 v[40:41], v[40:41], v[36:37]
	v_pk_add_f32 v[46:47], v[52:53], v[54:55] neg_lo:[0,1] neg_hi:[0,1]
	v_pk_mul_f32 v[44:45], v[44:45], s[10:11]
	v_pk_add_f32 v[52:53], v[60:61], v[18:19] neg_lo:[0,1] neg_hi:[0,1]
	v_pk_add_f32 v[12:13], v[42:43], v[12:13]
	v_pk_mul_f32 v[48:49], v[48:49], s[20:21]
	v_pk_add_f32 v[40:41], v[40:41], v[16:17]
	v_pk_mul_f32 v[50:51], v[46:47], s[12:13]
	v_pk_mul_f32 v[54:55], v[52:53], s[22:23]
	v_pk_fma_f32 v[42:43], v[42:43], s[18:19], v[12:13] op_sel_hi:[1,0,1]
	v_pk_fma_f32 v[52:53], v[52:53], s[22:23], v[48:49]
	v_pk_fma_f32 v[46:47], v[46:47], s[12:13], v[44:45]
	v_pk_add_f32 v[52:53], v[52:53], v[42:43]
	v_pk_fma_f32 v[46:47], v[40:41], s[4:5], v[46:47] op_sel_hi:[1,0,1]
	v_mov_b32_e32 v18, v23
	v_pk_add_f32 v[56:57], v[52:53], v[46:47]
	v_pk_add_f32 v[46:47], v[52:53], v[46:47] neg_lo:[0,1] neg_hi:[0,1]
	v_mov_b32_e32 v52, v56
	v_mov_b32_e32 v53, v47
	;; [unrolled: 1-line block ×3, first 2 shown]
	ds_write2_b64 v33, v[12:13], v[52:53] offset1:22
	v_pk_add_f32 v[12:13], v[36:37], v[16:17] neg_lo:[0,1] neg_hi:[0,1]
	v_pk_add_f32 v[14:15], v[18:19], v[20:21] neg_lo:[0,1] neg_hi:[0,1]
	v_mov_b32_e32 v16, v54
	v_mov_b32_e32 v17, v49
	;; [unrolled: 1-line block ×6, first 2 shown]
	v_pk_fma_f32 v[16:17], v[14:15], s[16:17], v[16:17] op_sel_hi:[1,0,1] neg_lo:[1,0,1] neg_hi:[1,0,1]
	v_pk_fma_f32 v[18:19], v[12:13], s[14:15], v[18:19] op_sel_hi:[1,0,1] neg_lo:[1,0,1] neg_hi:[1,0,1]
	;; [unrolled: 1-line block ×4, first 2 shown]
	v_pk_add_f32 v[16:17], v[16:17], v[42:43]
	v_pk_fma_f32 v[18:19], v[40:41], s[4:5], v[18:19] op_sel_hi:[1,0,1]
	v_pk_add_f32 v[14:15], v[14:15], v[42:43]
	v_pk_fma_f32 v[12:13], v[40:41], s[4:5], v[12:13] op_sel_hi:[1,0,1]
	v_pk_add_f32 v[20:21], v[16:17], v[18:19]
	v_pk_add_f32 v[16:17], v[16:17], v[18:19] neg_lo:[0,1] neg_hi:[0,1]
	v_pk_add_f32 v[22:23], v[14:15], v[12:13] neg_lo:[0,1] neg_hi:[0,1]
	v_pk_add_f32 v[12:13], v[14:15], v[12:13]
	v_mov_b32_e32 v18, v20
	v_mov_b32_e32 v19, v17
	v_mov_b32_e32 v14, v22
	v_mov_b32_e32 v15, v13
	v_mov_b32_e32 v13, v23
	v_mov_b32_e32 v17, v21
	v_mov_b32_e32 v47, v57
	ds_write2_b64 v33, v[18:19], v[14:15] offset0:44 offset1:66
	ds_write2_b64 v33, v[12:13], v[16:17] offset0:88 offset1:110
	ds_write_b64 v33, v[46:47] offset:1056
	s_and_saveexec_b64 s[24:25], vcc
	s_cbranch_execz .LBB0_19
; %bb.18:
	v_lshrrev_b32_e32 v12, 20, v31
	v_mul_lo_u16_e32 v12, 22, v12
	v_sub_u16_e32 v31, v29, v12
	v_mul_u32_u24_e32 v12, 6, v31
	v_lshlrev_b32_e32 v33, 3, v12
	global_load_dwordx4 v[12:15], v33, s[8:9] offset:88
	global_load_dwordx4 v[16:19], v33, s[8:9] offset:120
	;; [unrolled: 1-line block ×3, first 2 shown]
	v_mov_b32_e32 v36, v3
	v_lshrrev_b16_e32 v3, 1, v29
	v_and_b32_e32 v3, 0x7f, v3
	v_mul_lo_u16_e32 v3, 0xbb, v3
	v_lshrrev_b16_e32 v3, 11, v3
	v_mov_b32_e32 v37, v2
	v_mov_b32_e32 v40, v7
	v_mov_b32_e32 v42, v7
	v_mov_b32_e32 v44, v11
	v_mov_b32_e32 v46, v11
	v_mov_b32_e32 v48, v1
	v_mov_b32_e32 v50, v35
	v_mov_b32_e32 v52, v35
	v_mov_b32_e32 v54, v9
	v_mov_b32_e32 v56, v9
	v_lshlrev_b32_e32 v29, 3, v31
	v_mul_u32_u24_e32 v3, 0x4d0, v3
	v_add3_u32 v29, 0, v3, v29
	s_waitcnt vmcnt(2)
	v_pk_mul_f32 v[6:7], v[6:7], v[12:13] op_sel_hi:[0,1]
	s_waitcnt vmcnt(1)
	v_pk_mul_f32 v[10:11], v[10:11], v[18:19] op_sel_hi:[0,1]
	s_waitcnt vmcnt(0)
	v_mov_b32_e32 v58, v23
	v_pk_mul_f32 v[34:35], v[34:35], v[14:15] op_sel_hi:[0,1]
	v_pk_mul_f32 v[8:9], v[8:9], v[16:17] op_sel_hi:[0,1]
	v_pk_mul_f32 v[2:3], v[2:3], v[22:23]
	v_pk_mul_f32 v[60:61], v[0:1], v[20:21]
	v_pk_mul_f32 v[48:49], v[48:49], v[20:21] op_sel:[0,1] op_sel_hi:[1,0]
	v_pk_mul_f32 v[62:63], v[0:1], v[20:21] op_sel:[0,1] op_sel_hi:[1,0]
	v_pk_mul_f32 v[64:65], v[36:37], v[22:23]
	v_pk_mul_f32 v[58:59], v[36:37], v[58:59]
	v_pk_fma_f32 v[44:45], v[44:45], v[18:19], v[10:11] op_sel:[0,0,1] op_sel_hi:[1,1,0] neg_lo:[0,0,1] neg_hi:[0,0,1]
	v_pk_fma_f32 v[10:11], v[46:47], v[18:19], v[10:11] op_sel:[0,0,1] op_sel_hi:[0,1,0]
	v_pk_fma_f32 v[18:19], v[40:41], v[12:13], v[6:7] op_sel:[0,0,1] op_sel_hi:[1,1,0] neg_lo:[0,0,1] neg_hi:[0,0,1]
	v_pk_fma_f32 v[6:7], v[42:43], v[12:13], v[6:7] op_sel:[0,0,1] op_sel_hi:[0,1,0]
	;; [unrolled: 2-line block ×4, first 2 shown]
	v_mov_b32_e32 v62, v63
	v_mov_b32_e32 v64, v65
	;; [unrolled: 1-line block ×10, first 2 shown]
	v_pk_fma_f32 v[0:1], v[0:1], v[20:21], v[62:63] op_sel:[0,1,0] op_sel_hi:[1,0,1] neg_lo:[1,0,0] neg_hi:[1,0,0]
	v_pk_fma_f32 v[20:21], v[36:37], v[22:23], v[64:65] neg_lo:[0,0,1] neg_hi:[0,0,1]
	v_pk_add_f32 v[6:7], v[18:19], v[44:45]
	v_pk_add_f32 v[8:9], v[16:17], v[12:13]
	;; [unrolled: 1-line block ×4, first 2 shown]
	v_pk_add_f32 v[10:11], v[18:19], v[44:45] neg_lo:[0,1] neg_hi:[0,1]
	v_pk_add_f32 v[12:13], v[16:17], v[12:13] neg_lo:[0,1] neg_hi:[0,1]
	v_mov_b32_e32 v17, v0
	v_mov_b32_e32 v19, v20
	v_mov_b32_e32 v21, v2
	v_mov_b32_e32 v1, v14
	v_mov_b32_e32 v16, v9
	v_mov_b32_e32 v18, v7
	v_pk_add_f32 v[40:41], v[14:15], v[2:3]
	v_pk_add_f32 v[0:1], v[20:21], v[0:1] neg_lo:[0,1] neg_hi:[0,1]
	v_pk_add_f32 v[16:17], v[16:17], v[18:19]
	v_mov_b32_e32 v22, v10
	v_mov_b32_e32 v35, v13
	;; [unrolled: 1-line block ×4, first 2 shown]
	v_pk_add_f32 v[20:21], v[16:17], v[40:41]
	v_mov_b32_e32 v16, v7
	v_mov_b32_e32 v41, v15
	;; [unrolled: 1-line block ×3, first 2 shown]
	v_pk_add_f32 v[18:19], v[0:1], v[12:13]
	v_mov_b32_e32 v36, v0
	v_mov_b32_e32 v0, v12
	v_pk_add_f32 v[22:23], v[22:23], v[34:35] neg_lo:[0,1] neg_hi:[0,1]
	v_pk_add_f32 v[34:35], v[16:17], v[40:41] neg_lo:[0,1] neg_hi:[0,1]
	v_mov_b32_e32 v41, v3
	v_mov_b32_e32 v16, v9
	v_pk_add_f32 v[0:1], v[36:37], v[0:1] neg_lo:[0,1] neg_hi:[0,1]
	v_pk_add_f32 v[16:17], v[40:41], v[16:17] neg_lo:[0,1] neg_hi:[0,1]
	v_pk_add_f32 v[4:5], v[4:5], v[20:21]
	v_pk_mul_f32 v[0:1], v[0:1], s[10:11]
	v_pk_mul_f32 v[16:17], v[16:17], s[20:21]
	v_pk_add_f32 v[18:19], v[18:19], v[10:11]
	v_pk_mul_f32 v[36:37], v[22:23], s[12:13]
	v_pk_mul_f32 v[42:43], v[34:35], s[22:23]
	v_pk_fma_f32 v[22:23], v[22:23], s[12:13], v[0:1]
	v_pk_fma_f32 v[34:35], v[34:35], s[22:23], v[16:17]
	v_pk_fma_f32 v[20:21], v[20:21], s[18:19], v[4:5] op_sel_hi:[1,0,1]
	v_pk_fma_f32 v[22:23], v[18:19], s[4:5], v[22:23] op_sel_hi:[1,0,1]
	v_pk_add_f32 v[34:35], v[34:35], v[20:21]
	v_mov_b32_e32 v14, v9
	v_pk_add_f32 v[40:41], v[34:35], v[22:23]
	v_pk_add_f32 v[22:23], v[34:35], v[22:23] neg_lo:[0,1] neg_hi:[0,1]
	v_mov_b32_e32 v34, v40
	v_mov_b32_e32 v35, v23
	;; [unrolled: 1-line block ×3, first 2 shown]
	ds_write2_b64 v29, v[4:5], v[34:35] offset1:22
	v_pk_add_f32 v[4:5], v[12:13], v[10:11] neg_lo:[0,1] neg_hi:[0,1]
	v_mov_b32_e32 v10, v36
	v_mov_b32_e32 v11, v1
	v_pk_add_f32 v[2:3], v[14:15], v[2:3] neg_lo:[0,1] neg_hi:[0,1]
	v_mov_b32_e32 v6, v42
	v_mov_b32_e32 v7, v17
	;; [unrolled: 1-line block ×4, first 2 shown]
	v_pk_fma_f32 v[10:11], v[4:5], s[14:15], v[10:11] op_sel_hi:[1,0,1] neg_lo:[1,0,1] neg_hi:[1,0,1]
	v_pk_fma_f32 v[6:7], v[2:3], s[16:17], v[6:7] op_sel_hi:[1,0,1] neg_lo:[1,0,1] neg_hi:[1,0,1]
	;; [unrolled: 1-line block ×4, first 2 shown]
	v_pk_fma_f32 v[10:11], v[18:19], s[4:5], v[10:11] op_sel_hi:[1,0,1]
	v_pk_add_f32 v[6:7], v[6:7], v[20:21]
	v_pk_fma_f32 v[0:1], v[18:19], s[4:5], v[0:1] op_sel_hi:[1,0,1]
	v_pk_add_f32 v[2:3], v[2:3], v[20:21]
	v_pk_add_f32 v[8:9], v[6:7], v[10:11]
	v_pk_add_f32 v[6:7], v[6:7], v[10:11] neg_lo:[0,1] neg_hi:[0,1]
	v_pk_add_f32 v[4:5], v[2:3], v[0:1] neg_lo:[0,1] neg_hi:[0,1]
	v_pk_add_f32 v[0:1], v[2:3], v[0:1]
	v_mov_b32_e32 v10, v8
	v_mov_b32_e32 v11, v7
	v_mov_b32_e32 v2, v4
	v_mov_b32_e32 v3, v1
	v_mov_b32_e32 v1, v5
	v_mov_b32_e32 v7, v9
	v_mov_b32_e32 v23, v41
	ds_write2_b64 v29, v[10:11], v[2:3] offset0:44 offset1:66
	ds_write2_b64 v29, v[0:1], v[6:7] offset0:88 offset1:110
	ds_write_b64 v29, v[22:23] offset:1056
.LBB0_19:
	s_or_b64 exec, exec, s[24:25]
	v_lshlrev_b32_e32 v0, 2, v28
	v_mov_b32_e32 v1, 0
	v_lshl_add_u64 v[10:11], v[0:1], 3, s[8:9]
	s_waitcnt lgkmcnt(0)
	s_barrier
	global_load_dwordx4 v[2:5], v[10:11], off offset:1144
	global_load_dwordx4 v[6:9], v[10:11], off offset:1160
	v_add_u32_e32 v0, 0xc00, v80
	v_add_u32_e32 v55, 0x1800, v80
	;; [unrolled: 1-line block ×3, first 2 shown]
	ds_read2_b64 v[10:13], v80 offset1:154
	ds_read_b64 v[22:23], v39
	ds_read2_b64 v[14:17], v0 offset0:78 offset1:232
	ds_read2_b64 v[18:21], v55 offset0:2 offset1:156
	;; [unrolled: 1-line block ×3, first 2 shown]
	ds_read_b64 v[40:41], v80 offset:11088
	s_mov_b32 s10, 0x3f737871
	s_mov_b32 s12, 0x3f167918
	;; [unrolled: 1-line block ×3, first 2 shown]
	s_waitcnt lgkmcnt(0)
	s_barrier
	v_mov_b32_e32 v29, v1
	v_mov_b32_e32 v33, v1
	;; [unrolled: 1-line block ×3, first 2 shown]
	s_waitcnt vmcnt(1)
	v_pk_mul_f32 v[42:43], v[2:3], v[22:23] op_sel:[0,1]
	v_pk_mul_f32 v[44:45], v[4:5], v[16:17] op_sel:[0,1]
	s_waitcnt vmcnt(0)
	v_pk_mul_f32 v[46:47], v[6:7], v[20:21] op_sel:[0,1]
	v_pk_mul_f32 v[48:49], v[8:9], v[36:37] op_sel:[0,1]
	;; [unrolled: 1-line block ×3, first 2 shown]
	v_mov_b32_e32 v0, v5
	v_pk_fma_f32 v[56:57], v[2:3], v[22:23], v[42:43] op_sel:[0,0,1] op_sel_hi:[1,1,0]
	v_pk_fma_f32 v[22:23], v[2:3], v[22:23], v[42:43] op_sel:[0,0,1] op_sel_hi:[1,0,0] neg_lo:[1,0,0] neg_hi:[1,0,0]
	v_pk_fma_f32 v[42:43], v[4:5], v[16:17], v[44:45] op_sel:[0,0,1] op_sel_hi:[1,1,0]
	v_pk_fma_f32 v[16:17], v[4:5], v[16:17], v[44:45] op_sel:[0,0,1] op_sel_hi:[1,0,0] neg_lo:[1,0,0] neg_hi:[1,0,0]
	v_pk_fma_f32 v[44:45], v[6:7], v[20:21], v[46:47] op_sel:[0,0,1] op_sel_hi:[1,1,0]
	v_pk_fma_f32 v[20:21], v[6:7], v[20:21], v[46:47] op_sel:[0,0,1] op_sel_hi:[1,0,0] neg_lo:[1,0,0] neg_hi:[1,0,0]
	v_pk_fma_f32 v[46:47], v[8:9], v[36:37], v[48:49] op_sel:[0,0,1] op_sel_hi:[1,1,0]
	v_pk_fma_f32 v[36:37], v[8:9], v[36:37], v[48:49] op_sel:[0,0,1] op_sel_hi:[1,0,0] neg_lo:[1,0,0] neg_hi:[1,0,0]
	v_pk_mul_f32 v[52:53], v[34:35], v[6:7] op_sel:[0,1]
	v_mov_b32_e32 v54, v9
	v_pk_fma_f32 v[48:49], v[2:3], v[14:15], v[50:51] op_sel:[0,0,1] op_sel_hi:[1,1,0]
	v_pk_fma_f32 v[2:3], v[2:3], v[14:15], v[50:51] op_sel:[0,0,1] op_sel_hi:[1,0,0] neg_lo:[1,0,0] neg_hi:[1,0,0]
	v_pk_mul_f32 v[14:15], v[18:19], v[0:1] op_sel_hi:[1,0]
	v_mov_b32_e32 v57, v23
	v_mov_b32_e32 v43, v17
	v_mov_b32_e32 v45, v21
	v_mov_b32_e32 v47, v37
	v_pk_fma_f32 v[50:51], v[34:35], v[6:7], v[52:53] op_sel:[0,0,1] op_sel_hi:[1,1,0]
	v_pk_fma_f32 v[6:7], v[34:35], v[6:7], v[52:53] op_sel:[0,0,1] op_sel_hi:[1,0,0] neg_lo:[0,0,1] neg_hi:[0,0,1]
	v_pk_mul_f32 v[34:35], v[40:41], v[54:55] op_sel_hi:[1,0]
	v_mov_b32_e32 v49, v3
	v_pk_fma_f32 v[2:3], v[18:19], v[4:5], v[14:15] op_sel:[0,0,1] op_sel_hi:[1,1,0]
	v_pk_fma_f32 v[4:5], v[18:19], v[4:5], v[14:15] op_sel:[0,0,1] op_sel_hi:[1,0,0] neg_lo:[0,0,1] neg_hi:[0,0,1]
	v_pk_add_f32 v[14:15], v[10:11], v[56:57]
	v_pk_add_f32 v[16:17], v[42:43], v[44:45]
	v_pk_add_f32 v[18:19], v[56:57], v[46:47] neg_lo:[0,1] neg_hi:[0,1]
	v_pk_add_f32 v[20:21], v[42:43], v[44:45] neg_lo:[0,1] neg_hi:[0,1]
	v_pk_add_f32 v[36:37], v[56:57], v[46:47]
	v_mov_b32_e32 v51, v7
	v_pk_fma_f32 v[6:7], v[40:41], v[8:9], v[34:35] op_sel:[0,0,1] op_sel_hi:[1,1,0]
	v_pk_fma_f32 v[8:9], v[40:41], v[8:9], v[34:35] op_sel:[0,0,1] op_sel_hi:[1,0,0] neg_lo:[0,0,1] neg_hi:[0,0,1]
	v_pk_add_f32 v[22:23], v[56:57], v[42:43] neg_lo:[0,1] neg_hi:[0,1]
	v_pk_add_f32 v[40:41], v[42:43], v[56:57] neg_lo:[0,1] neg_hi:[0,1]
	v_mov_b32_e32 v3, v5
	v_pk_add_f32 v[4:5], v[14:15], v[42:43]
	v_pk_fma_f32 v[14:15], v[16:17], 0.5, v[10:11] op_sel_hi:[1,0,1] neg_lo:[1,0,0] neg_hi:[1,0,0]
	v_pk_mul_f32 v[16:17], v[18:19], s[10:11] op_sel_hi:[1,0]
	v_pk_mul_f32 v[42:43], v[20:21], s[12:13] op_sel_hi:[1,0]
	v_pk_fma_f32 v[10:11], v[36:37], 0.5, v[10:11] op_sel_hi:[1,0,1] neg_lo:[1,0,0] neg_hi:[1,0,0]
	v_pk_mul_f32 v[20:21], v[20:21], s[10:11] op_sel_hi:[1,0]
	v_pk_mul_f32 v[18:19], v[18:19], s[12:13] op_sel_hi:[1,0]
	v_pk_add_f32 v[36:37], v[14:15], v[16:17] op_sel:[0,1] op_sel_hi:[1,0] neg_lo:[0,1] neg_hi:[0,1]
	v_pk_add_f32 v[14:15], v[14:15], v[16:17] op_sel:[0,1] op_sel_hi:[1,0]
	v_pk_add_f32 v[16:17], v[10:11], v[20:21] op_sel:[0,1] op_sel_hi:[1,0]
	v_pk_add_f32 v[10:11], v[10:11], v[20:21] op_sel:[0,1] op_sel_hi:[1,0] neg_lo:[0,1] neg_hi:[0,1]
	v_mov_b32_e32 v7, v9
	v_pk_add_f32 v[8:9], v[12:13], v[48:49]
	v_pk_add_f32 v[34:35], v[46:47], v[44:45] neg_lo:[0,1] neg_hi:[0,1]
	v_pk_add_f32 v[52:53], v[44:45], v[46:47] neg_lo:[0,1] neg_hi:[0,1]
	v_pk_add_f32 v[14:15], v[14:15], v[42:43] op_sel:[0,1] op_sel_hi:[1,0]
	v_pk_add_f32 v[20:21], v[36:37], v[42:43] op_sel:[0,1] op_sel_hi:[1,0] neg_lo:[0,1] neg_hi:[0,1]
	v_pk_add_f32 v[10:11], v[10:11], v[18:19] op_sel:[0,1] op_sel_hi:[1,0]
	v_pk_add_f32 v[16:17], v[16:17], v[18:19] op_sel:[0,1] op_sel_hi:[1,0] neg_lo:[0,1] neg_hi:[0,1]
	v_pk_add_f32 v[8:9], v[8:9], v[2:3]
	v_pk_add_f32 v[22:23], v[22:23], v[34:35]
	;; [unrolled: 1-line block ×4, first 2 shown]
	v_mov_b32_e32 v18, v20
	v_mov_b32_e32 v19, v15
	;; [unrolled: 1-line block ×5, first 2 shown]
	v_pk_add_f32 v[8:9], v[8:9], v[50:51]
	v_pk_add_f32 v[4:5], v[4:5], v[46:47]
	v_mov_b32_e32 v11, v17
	v_pk_fma_f32 v[16:17], v[22:23], s[4:5], v[18:19] op_sel_hi:[1,0,1]
	v_pk_fma_f32 v[18:19], v[34:35], s[4:5], v[36:37] op_sel_hi:[1,0,1]
	;; [unrolled: 1-line block ×3, first 2 shown]
	v_pk_add_f32 v[8:9], v[8:9], v[6:7]
	v_add_u32_e32 v36, 0x1200, v80
	v_pk_fma_f32 v[10:11], v[34:35], s[4:5], v[10:11] op_sel_hi:[1,0,1]
	ds_write2_b64 v80, v[4:5], v[16:17] offset1:154
	v_add_u32_e32 v0, 0x800, v80
	ds_write2_b64 v36, v[14:15], v[8:9] offset0:40 offset1:194
	v_pk_add_f32 v[4:5], v[2:3], v[50:51]
	v_pk_add_f32 v[8:9], v[48:49], v[6:7] neg_lo:[0,1] neg_hi:[0,1]
	ds_write2_b64 v0, v[18:19], v[10:11] offset0:52 offset1:206
	v_pk_fma_f32 v[4:5], v[4:5], 0.5, v[12:13] op_sel_hi:[1,0,1] neg_lo:[1,0,0] neg_hi:[1,0,0]
	v_pk_mul_f32 v[10:11], v[8:9], s[10:11] op_sel_hi:[1,0]
	v_pk_add_f32 v[14:15], v[2:3], v[50:51] neg_lo:[0,1] neg_hi:[0,1]
	v_pk_add_f32 v[18:19], v[48:49], v[2:3] neg_lo:[0,1] neg_hi:[0,1]
	;; [unrolled: 1-line block ×3, first 2 shown]
	v_pk_mul_f32 v[16:17], v[14:15], s[12:13] op_sel_hi:[1,0]
	v_pk_add_f32 v[18:19], v[18:19], v[20:21]
	v_pk_add_f32 v[20:21], v[4:5], v[10:11] op_sel:[0,1] op_sel_hi:[1,0] neg_lo:[0,1] neg_hi:[0,1]
	v_pk_add_f32 v[4:5], v[4:5], v[10:11] op_sel:[0,1] op_sel_hi:[1,0]
	v_pk_add_f32 v[10:11], v[20:21], v[16:17] op_sel:[0,1] op_sel_hi:[1,0] neg_lo:[0,1] neg_hi:[0,1]
	v_pk_add_f32 v[20:21], v[48:49], v[6:7]
	v_pk_add_f32 v[2:3], v[2:3], v[48:49] neg_lo:[0,1] neg_hi:[0,1]
	v_pk_add_f32 v[6:7], v[50:51], v[6:7] neg_lo:[0,1] neg_hi:[0,1]
	v_pk_fma_f32 v[12:13], v[20:21], 0.5, v[12:13] op_sel_hi:[1,0,1] neg_lo:[1,0,0] neg_hi:[1,0,0]
	v_pk_add_f32 v[2:3], v[2:3], v[6:7]
	v_pk_mul_f32 v[6:7], v[14:15], s[10:11] op_sel_hi:[1,0]
	v_pk_mul_f32 v[8:9], v[8:9], s[12:13] op_sel_hi:[1,0]
	v_pk_add_f32 v[14:15], v[12:13], v[6:7] op_sel:[0,1] op_sel_hi:[1,0]
	v_pk_add_f32 v[6:7], v[12:13], v[6:7] op_sel:[0,1] op_sel_hi:[1,0] neg_lo:[0,1] neg_hi:[0,1]
	v_pk_add_f32 v[4:5], v[4:5], v[16:17] op_sel:[0,1] op_sel_hi:[1,0]
	v_pk_add_f32 v[6:7], v[6:7], v[8:9] op_sel:[0,1] op_sel_hi:[1,0]
	v_pk_add_f32 v[8:9], v[14:15], v[8:9] op_sel:[0,1] op_sel_hi:[1,0] neg_lo:[0,1] neg_hi:[0,1]
	v_mov_b32_e32 v16, v10
	v_mov_b32_e32 v17, v5
	;; [unrolled: 1-line block ×4, first 2 shown]
	v_pk_fma_f32 v[16:17], v[18:19], s[4:5], v[16:17] op_sel_hi:[1,0,1]
	v_pk_fma_f32 v[12:13], v[2:3], s[4:5], v[12:13] op_sel_hi:[1,0,1]
	v_add_u32_e32 v8, 0x1c00, v80
	v_mov_b32_e32 v7, v9
	v_mov_b32_e32 v5, v11
	ds_write2_b64 v8, v[16:17], v[12:13] offset0:28 offset1:182
	v_pk_fma_f32 v[2:3], v[2:3], s[4:5], v[6:7] op_sel_hi:[1,0,1]
	v_pk_fma_f32 v[4:5], v[18:19], s[4:5], v[4:5] op_sel_hi:[1,0,1]
	v_add_u32_e32 v12, 0x2400, v80
	ds_write2_b64 v12, v[2:3], v[4:5] offset0:80 offset1:234
	v_lshl_add_u64 v[2:3], v[28:29], 3, s[8:9]
	s_movk_i32 s4, 0x1000
	v_add_co_u32_e32 v4, vcc, s4, v2
	v_lshl_add_u64 v[6:7], v[32:33], 3, s[8:9]
	s_nop 0
	v_addc_co_u32_e32 v5, vcc, 0, v3, vcc
	s_waitcnt lgkmcnt(0)
	s_barrier
	global_load_dwordx2 v[16:17], v[4:5], off offset:1976
	v_add_co_u32_e32 v0, vcc, s4, v6
	global_load_dwordx2 v[18:19], v[4:5], off offset:3208
	s_nop 0
	v_addc_co_u32_e32 v1, vcc, 0, v7, vcc
	global_load_dwordx2 v[20:21], v[0:1], off offset:1976
	v_lshl_add_u64 v[0:1], v[30:31], 3, s[8:9]
	v_add_co_u32_e32 v0, vcc, s4, v0
	s_movk_i32 s4, 0x2000
	s_nop 0
	v_addc_co_u32_e32 v1, vcc, 0, v1, vcc
	global_load_dwordx2 v[22:23], v[0:1], off offset:1976
	v_add_co_u32_e32 v0, vcc, s4, v2
	s_add_u32 s4, s8, 0x2fc8
	s_nop 0
	v_addc_co_u32_e32 v1, vcc, 0, v3, vcc
	global_load_dwordx2 v[34:35], v[0:1], off offset:2808
	ds_read2_b64 v[0:3], v80 offset1:154
	ds_read2_b64 v[4:7], v36 offset0:40 offset1:194
	ds_read2_b64 v[8:11], v8 offset0:28 offset1:182
	ds_read_b64 v[36:37], v39
	ds_read_b64 v[40:41], v38
	ds_read2_b64 v[12:15], v12 offset0:80 offset1:234
	s_waitcnt lgkmcnt(0)
	s_barrier
	s_addc_u32 s5, s9, 0
	v_cmp_ne_u32_e32 vcc, 0, v28
	s_waitcnt vmcnt(4)
	v_pk_mul_f32 v[42:43], v[16:17], v[6:7] op_sel:[0,1]
	s_nop 0
	v_pk_fma_f32 v[44:45], v[16:17], v[6:7], v[42:43] op_sel:[0,0,1] op_sel_hi:[1,1,0]
	v_pk_fma_f32 v[6:7], v[16:17], v[6:7], v[42:43] op_sel:[0,0,1] op_sel_hi:[1,0,0] neg_lo:[1,0,0] neg_hi:[1,0,0]
	s_waitcnt vmcnt(3)
	v_pk_mul_f32 v[16:17], v[18:19], v[8:9] op_sel:[0,1]
	v_mov_b32_e32 v45, v7
	v_pk_fma_f32 v[42:43], v[18:19], v[8:9], v[16:17] op_sel:[0,0,1] op_sel_hi:[1,1,0]
	v_pk_fma_f32 v[8:9], v[18:19], v[8:9], v[16:17] op_sel:[0,0,1] op_sel_hi:[1,0,0] neg_lo:[1,0,0] neg_hi:[1,0,0]
	s_waitcnt vmcnt(2)
	v_pk_mul_f32 v[16:17], v[20:21], v[10:11] op_sel:[0,1]
	v_mov_b32_e32 v43, v9
	v_pk_fma_f32 v[18:19], v[20:21], v[10:11], v[16:17] op_sel:[0,0,1] op_sel_hi:[1,1,0]
	v_pk_fma_f32 v[10:11], v[20:21], v[10:11], v[16:17] op_sel:[0,0,1] op_sel_hi:[1,0,0] neg_lo:[1,0,0] neg_hi:[1,0,0]
	v_pk_add_f32 v[6:7], v[0:1], v[44:45] neg_lo:[0,1] neg_hi:[0,1]
	v_mov_b32_e32 v19, v11
	v_pk_add_f32 v[10:11], v[36:37], v[18:19] neg_lo:[0,1] neg_hi:[0,1]
	s_waitcnt vmcnt(1)
	v_pk_mul_f32 v[18:19], v[22:23], v[12:13] op_sel:[0,1]
	v_pk_add_f32 v[8:9], v[2:3], v[42:43] neg_lo:[0,1] neg_hi:[0,1]
	v_pk_fma_f32 v[20:21], v[22:23], v[12:13], v[18:19] op_sel:[0,0,1] op_sel_hi:[1,1,0]
	v_pk_fma_f32 v[12:13], v[22:23], v[12:13], v[18:19] op_sel:[0,0,1] op_sel_hi:[1,0,0] neg_lo:[1,0,0] neg_hi:[1,0,0]
	v_pk_fma_f32 v[0:1], v[0:1], 2.0, v[6:7] op_sel_hi:[1,0,1] neg_lo:[0,0,1] neg_hi:[0,0,1]
	v_mov_b32_e32 v21, v13
	v_pk_add_f32 v[12:13], v[40:41], v[20:21] neg_lo:[0,1] neg_hi:[0,1]
	s_waitcnt vmcnt(0)
	v_pk_mul_f32 v[20:21], v[34:35], v[14:15] op_sel:[0,1]
	v_pk_fma_f32 v[2:3], v[2:3], 2.0, v[8:9] op_sel_hi:[1,0,1] neg_lo:[0,0,1] neg_hi:[0,0,1]
	v_pk_fma_f32 v[22:23], v[34:35], v[14:15], v[20:21] op_sel:[0,0,1] op_sel_hi:[1,1,0]
	v_pk_fma_f32 v[14:15], v[34:35], v[14:15], v[20:21] op_sel:[0,0,1] op_sel_hi:[1,0,0] neg_lo:[1,0,0] neg_hi:[1,0,0]
	v_pk_fma_f32 v[16:17], v[36:37], 2.0, v[10:11] op_sel_hi:[1,0,1] neg_lo:[0,0,1] neg_hi:[0,0,1]
	v_mov_b32_e32 v23, v15
	v_pk_add_f32 v[14:15], v[4:5], v[22:23] neg_lo:[0,1] neg_hi:[0,1]
	v_pk_fma_f32 v[18:19], v[40:41], 2.0, v[12:13] op_sel_hi:[1,0,1] neg_lo:[0,0,1] neg_hi:[0,0,1]
	v_pk_fma_f32 v[4:5], v[4:5], 2.0, v[14:15] op_sel_hi:[1,0,1] neg_lo:[0,0,1] neg_hi:[0,0,1]
	ds_write2_b64 v80, v[0:1], v[2:3] offset1:154
	ds_write2_b64 v55, v[6:7], v[8:9] offset0:2 offset1:156
	ds_write_b64 v39, v[16:17]
	ds_write_b64 v39, v[10:11] offset:6160
	ds_write_b64 v38, v[18:19]
	ds_write_b64 v38, v[12:13] offset:6160
	ds_write_b64 v80, v[4:5] offset:4928
	;; [unrolled: 1-line block ×3, first 2 shown]
	s_waitcnt lgkmcnt(0)
	s_barrier
	ds_read_b64 v[6:7], v80
	v_lshlrev_b32_e32 v0, 3, v28
	v_sub_u32_e32 v8, 0, v0
	v_lshl_add_u64 v[0:1], v[28:29], 3, s[4:5]
                                        ; implicit-def: $vgpr5
                                        ; implicit-def: $vgpr2_vgpr3
	s_and_saveexec_b64 s[8:9], vcc
	s_xor_b64 s[8:9], exec, s[8:9]
	s_cbranch_execz .LBB0_21
; %bb.20:
	global_load_dwordx2 v[2:3], v[0:1], off
	ds_read_b64 v[4:5], v8 offset:12320
	v_mov_b32_e32 v11, 0.5
	v_mov_b32_e32 v12, v11
	s_waitcnt lgkmcnt(0)
	v_pk_add_f32 v[14:15], v[4:5], v[6:7]
	v_pk_add_f32 v[4:5], v[6:7], v[4:5] neg_lo:[0,1] neg_hi:[0,1]
	v_mov_b32_e32 v6, v15
	v_mov_b32_e32 v7, v4
	v_pk_mul_f32 v[6:7], v[6:7], 0.5 op_sel_hi:[1,0]
	s_waitcnt vmcnt(0)
	v_mov_b32_e32 v10, v3
	v_mov_b32_e32 v4, v7
	;; [unrolled: 1-line block ×4, first 2 shown]
	v_pk_mul_f32 v[4:5], v[10:11], v[4:5]
	v_pk_mul_f32 v[16:17], v[2:3], v[6:7] op_sel_hi:[0,1]
	v_pk_fma_f32 v[10:11], v[14:15], v[12:13], v[4:5]
	v_pk_fma_f32 v[12:13], v[14:15], v[12:13], v[4:5] neg_lo:[0,0,1] neg_hi:[0,0,1]
	v_pk_fma_f32 v[4:5], v[2:3], v[6:7], v[10:11] op_sel_hi:[0,1,1] neg_lo:[1,0,0] neg_hi:[1,0,0]
	v_pk_fma_f32 v[2:3], v[2:3], v[6:7], v[12:13] op_sel_hi:[0,1,1] neg_lo:[1,0,0] neg_hi:[1,0,0]
	v_add_f32_e32 v4, v10, v16
                                        ; implicit-def: $vgpr6_vgpr7
.LBB0_21:
	s_andn2_saveexec_b64 s[8:9], s[8:9]
	s_cbranch_execz .LBB0_23
; %bb.22:
	s_waitcnt lgkmcnt(0)
	v_mov_b32_e32 v2, v7
	v_pk_add_f32 v[2:3], v[6:7], v[2:3] neg_lo:[0,1] neg_hi:[0,1]
	v_add_f32_e32 v4, v7, v6
	v_mov_b32_e32 v3, 0
	ds_read_b32 v5, v3 offset:6164
	s_waitcnt lgkmcnt(0)
	v_xor_b32_e32 v5, 0x80000000, v5
	ds_write_b32 v3, v5 offset:6164
	v_mov_b32_e32 v5, v3
.LBB0_23:
	s_or_b64 exec, exec, s[8:9]
	s_waitcnt lgkmcnt(0)
	global_load_dwordx2 v[6:7], v[0:1], off offset:1232
	v_lshl_add_u64 v[10:11], v[32:33], 3, s[4:5]
	global_load_dwordx2 v[10:11], v[10:11], off
	v_lshl_add_u64 v[12:13], v[30:31], 3, s[4:5]
	global_load_dwordx2 v[12:13], v[12:13], off
	s_movk_i32 s4, 0x1000
	v_add_co_u32_e32 v0, vcc, s4, v0
	v_mov_b32_e32 v15, 0.5
	s_nop 0
	v_addc_co_u32_e32 v1, vcc, 0, v1, vcc
	global_load_dwordx2 v[0:1], v[0:1], off offset:832
	ds_write_b64 v80, v[4:5]
	ds_write_b64 v8, v[2:3] offset:12320
	ds_read_b64 v[2:3], v80 offset:1232
	ds_read_b64 v[4:5], v8 offset:11088
	v_mov_b32_e32 v16, v15
	s_waitcnt lgkmcnt(0)
	v_pk_add_f32 v[18:19], v[2:3], v[4:5]
	v_pk_add_f32 v[2:3], v[2:3], v[4:5] neg_lo:[0,1] neg_hi:[0,1]
	v_mov_b32_e32 v4, v19
	v_mov_b32_e32 v5, v2
	v_pk_mul_f32 v[4:5], v[4:5], 0.5 op_sel_hi:[1,0]
	s_waitcnt vmcnt(3)
	v_mov_b32_e32 v17, v7
	v_mov_b32_e32 v19, v4
	v_mov_b32_e32 v2, v5
	v_mov_b32_e32 v14, v7
	v_pk_mul_f32 v[16:17], v[18:19], v[16:17]
	s_nop 0
	v_pk_fma_f32 v[18:19], v[14:15], v[2:3], v[16:17] neg_lo:[1,0,0] neg_hi:[1,0,0]
	v_pk_fma_f32 v[2:3], v[14:15], v[2:3], v[16:17]
	v_pk_fma_f32 v[16:17], v[6:7], v[4:5], v[18:19] op_sel_hi:[0,1,1] neg_lo:[1,0,0] neg_hi:[1,0,0]
	v_pk_fma_f32 v[18:19], v[6:7], v[4:5], v[2:3] op_sel_hi:[0,1,1]
	v_pk_fma_f32 v[2:3], v[6:7], v[4:5], v[2:3] op_sel_hi:[0,1,1] neg_lo:[1,0,0] neg_hi:[1,0,0]
	v_mov_b32_e32 v19, v3
	ds_write_b64 v80, v[18:19] offset:1232
	ds_write_b64 v8, v[16:17] offset:11088
	ds_read_b64 v[2:3], v39
	ds_read_b64 v[4:5], v8 offset:9856
	v_mov_b32_e32 v6, v15
	s_waitcnt vmcnt(2)
	v_mov_b32_e32 v7, v11
	v_mov_b32_e32 v14, v11
	s_waitcnt lgkmcnt(0)
	v_pk_add_f32 v[16:17], v[2:3], v[4:5]
	v_pk_add_f32 v[2:3], v[2:3], v[4:5] neg_lo:[0,1] neg_hi:[0,1]
	v_mov_b32_e32 v4, v17
	v_mov_b32_e32 v5, v2
	v_pk_mul_f32 v[4:5], v[4:5], 0.5 op_sel_hi:[1,0]
	s_nop 0
	v_mov_b32_e32 v17, v4
	v_mov_b32_e32 v2, v5
	v_pk_mul_f32 v[6:7], v[16:17], v[6:7]
	s_nop 0
	v_pk_fma_f32 v[16:17], v[14:15], v[2:3], v[6:7] neg_lo:[1,0,0] neg_hi:[1,0,0]
	v_pk_fma_f32 v[2:3], v[14:15], v[2:3], v[6:7]
	v_pk_fma_f32 v[6:7], v[10:11], v[4:5], v[16:17] op_sel_hi:[0,1,1] neg_lo:[1,0,0] neg_hi:[1,0,0]
	v_pk_fma_f32 v[16:17], v[10:11], v[4:5], v[2:3] op_sel_hi:[0,1,1]
	v_pk_fma_f32 v[2:3], v[10:11], v[4:5], v[2:3] op_sel_hi:[0,1,1] neg_lo:[1,0,0] neg_hi:[1,0,0]
	v_mov_b32_e32 v17, v3
	ds_write_b64 v39, v[16:17]
	ds_write_b64 v8, v[6:7] offset:9856
	ds_read_b64 v[2:3], v38
	ds_read_b64 v[4:5], v8 offset:8624
	v_mov_b32_e32 v6, v15
	s_waitcnt vmcnt(1)
	v_mov_b32_e32 v7, v13
	v_mov_b32_e32 v14, v13
	s_waitcnt lgkmcnt(0)
	v_pk_add_f32 v[10:11], v[2:3], v[4:5]
	v_pk_add_f32 v[2:3], v[2:3], v[4:5] neg_lo:[0,1] neg_hi:[0,1]
	v_mov_b32_e32 v4, v11
	v_mov_b32_e32 v5, v2
	v_pk_mul_f32 v[4:5], v[4:5], 0.5 op_sel_hi:[1,0]
	s_nop 0
	v_mov_b32_e32 v11, v4
	v_mov_b32_e32 v2, v5
	v_pk_mul_f32 v[6:7], v[10:11], v[6:7]
	s_nop 0
	v_pk_fma_f32 v[10:11], v[14:15], v[2:3], v[6:7] neg_lo:[1,0,0] neg_hi:[1,0,0]
	v_pk_fma_f32 v[2:3], v[14:15], v[2:3], v[6:7]
	v_pk_fma_f32 v[6:7], v[12:13], v[4:5], v[10:11] op_sel_hi:[0,1,1] neg_lo:[1,0,0] neg_hi:[1,0,0]
	v_pk_fma_f32 v[10:11], v[12:13], v[4:5], v[2:3] op_sel_hi:[0,1,1]
	v_pk_fma_f32 v[2:3], v[12:13], v[4:5], v[2:3] op_sel_hi:[0,1,1] neg_lo:[1,0,0] neg_hi:[1,0,0]
	v_mov_b32_e32 v11, v3
	ds_write_b64 v38, v[10:11]
	ds_write_b64 v8, v[6:7] offset:8624
	ds_read_b64 v[2:3], v80 offset:4928
	ds_read_b64 v[4:5], v8 offset:7392
	v_mov_b32_e32 v6, v15
	s_waitcnt vmcnt(0)
	v_mov_b32_e32 v7, v1
	v_mov_b32_e32 v14, v1
	s_waitcnt lgkmcnt(0)
	v_pk_add_f32 v[10:11], v[2:3], v[4:5]
	v_pk_add_f32 v[2:3], v[2:3], v[4:5] neg_lo:[0,1] neg_hi:[0,1]
	v_mov_b32_e32 v4, v11
	v_mov_b32_e32 v5, v2
	v_pk_mul_f32 v[4:5], v[4:5], 0.5 op_sel_hi:[1,0]
	s_nop 0
	v_mov_b32_e32 v11, v4
	v_mov_b32_e32 v2, v5
	v_pk_mul_f32 v[6:7], v[10:11], v[6:7]
	s_nop 0
	v_pk_fma_f32 v[10:11], v[14:15], v[2:3], v[6:7] neg_lo:[1,0,0] neg_hi:[1,0,0]
	v_pk_fma_f32 v[2:3], v[14:15], v[2:3], v[6:7]
	v_pk_fma_f32 v[6:7], v[0:1], v[4:5], v[10:11] op_sel_hi:[0,1,1] neg_lo:[1,0,0] neg_hi:[1,0,0]
	v_pk_fma_f32 v[10:11], v[0:1], v[4:5], v[2:3] op_sel_hi:[0,1,1]
	v_pk_fma_f32 v[0:1], v[0:1], v[4:5], v[2:3] op_sel_hi:[0,1,1] neg_lo:[1,0,0] neg_hi:[1,0,0]
	v_mov_b32_e32 v11, v1
	ds_write_b64 v80, v[10:11] offset:4928
	ds_write_b64 v8, v[6:7] offset:7392
	s_waitcnt lgkmcnt(0)
	s_barrier
	s_and_saveexec_b64 s[4:5], s[0:1]
	s_cbranch_execz .LBB0_26
; %bb.24:
	v_mul_lo_u32 v2, s3, v26
	v_mul_lo_u32 v3, s2, v27
	v_mad_u64_u32 v[0:1], s[0:1], s2, v26, 0
	v_lshl_add_u32 v10, v28, 3, 0
	v_add3_u32 v1, v1, v3, v2
	ds_read2_b64 v[2:5], v10 offset1:154
	v_lshl_add_u64 v[0:1], v[0:1], 3, s[6:7]
	v_mov_b32_e32 v29, 0
	v_lshl_add_u64 v[0:1], v[24:25], 3, v[0:1]
	v_lshl_add_u64 v[6:7], v[28:29], 3, v[0:1]
	s_waitcnt lgkmcnt(0)
	global_store_dwordx2 v[6:7], v[2:3], off
	v_add_u32_e32 v6, 0x800, v10
	ds_read2_b64 v[6:9], v6 offset0:52 offset1:206
	v_add_u32_e32 v2, 0x9a, v28
	v_mov_b32_e32 v3, v29
	v_lshl_add_u64 v[2:3], v[2:3], 3, v[0:1]
	global_store_dwordx2 v[2:3], v[4:5], off
	v_add_u32_e32 v2, 0x134, v28
	v_mov_b32_e32 v3, v29
	v_lshl_add_u64 v[2:3], v[2:3], 3, v[0:1]
	s_waitcnt lgkmcnt(0)
	global_store_dwordx2 v[2:3], v[6:7], off
	v_add_u32_e32 v2, 0x1ce, v28
	v_mov_b32_e32 v3, v29
	v_lshl_add_u64 v[6:7], v[2:3], 3, v[0:1]
	v_add_u32_e32 v2, 0x1200, v10
	ds_read2_b64 v[2:5], v2 offset0:40 offset1:194
	global_store_dwordx2 v[6:7], v[8:9], off
	v_add_u32_e32 v6, 0x268, v28
	v_mov_b32_e32 v7, v29
	v_lshl_add_u64 v[6:7], v[6:7], 3, v[0:1]
	s_waitcnt lgkmcnt(0)
	global_store_dwordx2 v[6:7], v[2:3], off
	v_add_u32_e32 v6, 0x1c00, v10
	ds_read2_b64 v[6:9], v6 offset0:28 offset1:182
	v_add_u32_e32 v2, 0x302, v28
	v_mov_b32_e32 v3, v29
	v_lshl_add_u64 v[2:3], v[2:3], 3, v[0:1]
	global_store_dwordx2 v[2:3], v[4:5], off
	v_add_u32_e32 v2, 0x39c, v28
	v_mov_b32_e32 v3, v29
	v_lshl_add_u64 v[2:3], v[2:3], 3, v[0:1]
	s_waitcnt lgkmcnt(0)
	global_store_dwordx2 v[2:3], v[6:7], off
	v_add_u32_e32 v2, 0x436, v28
	v_mov_b32_e32 v3, v29
	v_lshl_add_u64 v[6:7], v[2:3], 3, v[0:1]
	v_add_u32_e32 v2, 0x2400, v10
	ds_read2_b64 v[2:5], v2 offset0:80 offset1:234
	global_store_dwordx2 v[6:7], v[8:9], off
	v_add_u32_e32 v6, 0x4d0, v28
	v_mov_b32_e32 v7, v29
	v_lshl_add_u64 v[6:7], v[6:7], 3, v[0:1]
	s_waitcnt lgkmcnt(0)
	global_store_dwordx2 v[6:7], v[2:3], off
	v_add_u32_e32 v2, 0x56a, v28
	v_mov_b32_e32 v3, v29
	s_movk_i32 s0, 0x99
	v_lshl_add_u64 v[2:3], v[2:3], 3, v[0:1]
	v_cmp_eq_u32_e32 vcc, s0, v28
	global_store_dwordx2 v[2:3], v[4:5], off
	s_and_b64 exec, exec, vcc
	s_cbranch_execz .LBB0_26
; %bb.25:
	ds_read_b64 v[2:3], v29 offset:12320
	v_add_co_u32_e32 v0, vcc, 0x3000, v0
	s_nop 1
	v_addc_co_u32_e32 v1, vcc, 0, v1, vcc
	s_waitcnt lgkmcnt(0)
	global_store_dwordx2 v[0:1], v[2:3], off offset:32
.LBB0_26:
	s_endpgm
	.section	.rodata,"a",@progbits
	.p2align	6, 0x0
	.amdhsa_kernel fft_rtc_back_len1540_factors_11_2_7_5_2_wgs_154_tpt_154_halfLds_sp_op_CI_CI_unitstride_sbrr_R2C_dirReg
		.amdhsa_group_segment_fixed_size 0
		.amdhsa_private_segment_fixed_size 0
		.amdhsa_kernarg_size 104
		.amdhsa_user_sgpr_count 2
		.amdhsa_user_sgpr_dispatch_ptr 0
		.amdhsa_user_sgpr_queue_ptr 0
		.amdhsa_user_sgpr_kernarg_segment_ptr 1
		.amdhsa_user_sgpr_dispatch_id 0
		.amdhsa_user_sgpr_kernarg_preload_length 0
		.amdhsa_user_sgpr_kernarg_preload_offset 0
		.amdhsa_user_sgpr_private_segment_size 0
		.amdhsa_uses_dynamic_stack 0
		.amdhsa_enable_private_segment 0
		.amdhsa_system_sgpr_workgroup_id_x 1
		.amdhsa_system_sgpr_workgroup_id_y 0
		.amdhsa_system_sgpr_workgroup_id_z 0
		.amdhsa_system_sgpr_workgroup_info 0
		.amdhsa_system_vgpr_workitem_id 0
		.amdhsa_next_free_vgpr 98
		.amdhsa_next_free_sgpr 32
		.amdhsa_accum_offset 100
		.amdhsa_reserve_vcc 1
		.amdhsa_float_round_mode_32 0
		.amdhsa_float_round_mode_16_64 0
		.amdhsa_float_denorm_mode_32 3
		.amdhsa_float_denorm_mode_16_64 3
		.amdhsa_dx10_clamp 1
		.amdhsa_ieee_mode 1
		.amdhsa_fp16_overflow 0
		.amdhsa_tg_split 0
		.amdhsa_exception_fp_ieee_invalid_op 0
		.amdhsa_exception_fp_denorm_src 0
		.amdhsa_exception_fp_ieee_div_zero 0
		.amdhsa_exception_fp_ieee_overflow 0
		.amdhsa_exception_fp_ieee_underflow 0
		.amdhsa_exception_fp_ieee_inexact 0
		.amdhsa_exception_int_div_zero 0
	.end_amdhsa_kernel
	.text
.Lfunc_end0:
	.size	fft_rtc_back_len1540_factors_11_2_7_5_2_wgs_154_tpt_154_halfLds_sp_op_CI_CI_unitstride_sbrr_R2C_dirReg, .Lfunc_end0-fft_rtc_back_len1540_factors_11_2_7_5_2_wgs_154_tpt_154_halfLds_sp_op_CI_CI_unitstride_sbrr_R2C_dirReg
                                        ; -- End function
	.section	.AMDGPU.csdata,"",@progbits
; Kernel info:
; codeLenInByte = 9180
; NumSgprs: 38
; NumVgprs: 98
; NumAgprs: 0
; TotalNumVgprs: 98
; ScratchSize: 0
; MemoryBound: 0
; FloatMode: 240
; IeeeMode: 1
; LDSByteSize: 0 bytes/workgroup (compile time only)
; SGPRBlocks: 4
; VGPRBlocks: 12
; NumSGPRsForWavesPerEU: 38
; NumVGPRsForWavesPerEU: 98
; AccumOffset: 100
; Occupancy: 4
; WaveLimiterHint : 1
; COMPUTE_PGM_RSRC2:SCRATCH_EN: 0
; COMPUTE_PGM_RSRC2:USER_SGPR: 2
; COMPUTE_PGM_RSRC2:TRAP_HANDLER: 0
; COMPUTE_PGM_RSRC2:TGID_X_EN: 1
; COMPUTE_PGM_RSRC2:TGID_Y_EN: 0
; COMPUTE_PGM_RSRC2:TGID_Z_EN: 0
; COMPUTE_PGM_RSRC2:TIDIG_COMP_CNT: 0
; COMPUTE_PGM_RSRC3_GFX90A:ACCUM_OFFSET: 24
; COMPUTE_PGM_RSRC3_GFX90A:TG_SPLIT: 0
	.text
	.p2alignl 6, 3212836864
	.fill 256, 4, 3212836864
	.type	__hip_cuid_c659c774abb2db02,@object ; @__hip_cuid_c659c774abb2db02
	.section	.bss,"aw",@nobits
	.globl	__hip_cuid_c659c774abb2db02
__hip_cuid_c659c774abb2db02:
	.byte	0                               ; 0x0
	.size	__hip_cuid_c659c774abb2db02, 1

	.ident	"AMD clang version 19.0.0git (https://github.com/RadeonOpenCompute/llvm-project roc-6.4.0 25133 c7fe45cf4b819c5991fe208aaa96edf142730f1d)"
	.section	".note.GNU-stack","",@progbits
	.addrsig
	.addrsig_sym __hip_cuid_c659c774abb2db02
	.amdgpu_metadata
---
amdhsa.kernels:
  - .agpr_count:     0
    .args:
      - .actual_access:  read_only
        .address_space:  global
        .offset:         0
        .size:           8
        .value_kind:     global_buffer
      - .offset:         8
        .size:           8
        .value_kind:     by_value
      - .actual_access:  read_only
        .address_space:  global
        .offset:         16
        .size:           8
        .value_kind:     global_buffer
      - .actual_access:  read_only
        .address_space:  global
        .offset:         24
        .size:           8
        .value_kind:     global_buffer
      - .actual_access:  read_only
        .address_space:  global
        .offset:         32
        .size:           8
        .value_kind:     global_buffer
      - .offset:         40
        .size:           8
        .value_kind:     by_value
      - .actual_access:  read_only
        .address_space:  global
        .offset:         48
        .size:           8
        .value_kind:     global_buffer
      - .actual_access:  read_only
        .address_space:  global
        .offset:         56
        .size:           8
        .value_kind:     global_buffer
      - .offset:         64
        .size:           4
        .value_kind:     by_value
      - .actual_access:  read_only
        .address_space:  global
        .offset:         72
        .size:           8
        .value_kind:     global_buffer
      - .actual_access:  read_only
        .address_space:  global
        .offset:         80
        .size:           8
        .value_kind:     global_buffer
      - .actual_access:  read_only
        .address_space:  global
        .offset:         88
        .size:           8
        .value_kind:     global_buffer
      - .actual_access:  write_only
        .address_space:  global
        .offset:         96
        .size:           8
        .value_kind:     global_buffer
    .group_segment_fixed_size: 0
    .kernarg_segment_align: 8
    .kernarg_segment_size: 104
    .language:       OpenCL C
    .language_version:
      - 2
      - 0
    .max_flat_workgroup_size: 154
    .name:           fft_rtc_back_len1540_factors_11_2_7_5_2_wgs_154_tpt_154_halfLds_sp_op_CI_CI_unitstride_sbrr_R2C_dirReg
    .private_segment_fixed_size: 0
    .sgpr_count:     38
    .sgpr_spill_count: 0
    .symbol:         fft_rtc_back_len1540_factors_11_2_7_5_2_wgs_154_tpt_154_halfLds_sp_op_CI_CI_unitstride_sbrr_R2C_dirReg.kd
    .uniform_work_group_size: 1
    .uses_dynamic_stack: false
    .vgpr_count:     98
    .vgpr_spill_count: 0
    .wavefront_size: 64
amdhsa.target:   amdgcn-amd-amdhsa--gfx950
amdhsa.version:
  - 1
  - 2
...

	.end_amdgpu_metadata
